;; amdgpu-corpus repo=ROCm/rocFFT kind=compiled arch=gfx906 opt=O3
	.text
	.amdgcn_target "amdgcn-amd-amdhsa--gfx906"
	.amdhsa_code_object_version 6
	.protected	fft_rtc_back_len1496_factors_17_8_11_wgs_187_tpt_187_halfLds_dp_ip_CI_sbrr_dirReg ; -- Begin function fft_rtc_back_len1496_factors_17_8_11_wgs_187_tpt_187_halfLds_dp_ip_CI_sbrr_dirReg
	.globl	fft_rtc_back_len1496_factors_17_8_11_wgs_187_tpt_187_halfLds_dp_ip_CI_sbrr_dirReg
	.p2align	8
	.type	fft_rtc_back_len1496_factors_17_8_11_wgs_187_tpt_187_halfLds_dp_ip_CI_sbrr_dirReg,@function
fft_rtc_back_len1496_factors_17_8_11_wgs_187_tpt_187_halfLds_dp_ip_CI_sbrr_dirReg: ; @fft_rtc_back_len1496_factors_17_8_11_wgs_187_tpt_187_halfLds_dp_ip_CI_sbrr_dirReg
; %bb.0:
	s_load_dwordx2 s[2:3], s[4:5], 0x18
	s_load_dwordx4 s[8:11], s[4:5], 0x0
	s_load_dwordx2 s[14:15], s[4:5], 0x50
	v_mul_u32_u24_e32 v1, 0x15f, v0
	v_add_u32_sdwa v5, s6, v1 dst_sel:DWORD dst_unused:UNUSED_PAD src0_sel:DWORD src1_sel:WORD_1
	s_waitcnt lgkmcnt(0)
	s_load_dwordx2 s[12:13], s[2:3], 0x0
	v_cmp_lt_u64_e64 s[0:1], s[10:11], 2
	v_mov_b32_e32 v3, 0
	v_mov_b32_e32 v1, 0
	;; [unrolled: 1-line block ×3, first 2 shown]
	s_and_b64 vcc, exec, s[0:1]
	v_mov_b32_e32 v2, 0
	s_cbranch_vccnz .LBB0_8
; %bb.1:
	s_load_dwordx2 s[0:1], s[4:5], 0x10
	s_add_u32 s6, s2, 8
	s_addc_u32 s7, s3, 0
	v_mov_b32_e32 v1, 0
	v_mov_b32_e32 v2, 0
	s_waitcnt lgkmcnt(0)
	s_add_u32 s16, s0, 8
	s_addc_u32 s17, s1, 0
	s_mov_b64 s[18:19], 1
.LBB0_2:                                ; =>This Inner Loop Header: Depth=1
	s_load_dwordx2 s[20:21], s[16:17], 0x0
                                        ; implicit-def: $vgpr7_vgpr8
	s_waitcnt lgkmcnt(0)
	v_or_b32_e32 v4, s21, v6
	v_cmp_ne_u64_e32 vcc, 0, v[3:4]
	s_and_saveexec_b64 s[0:1], vcc
	s_xor_b64 s[22:23], exec, s[0:1]
	s_cbranch_execz .LBB0_4
; %bb.3:                                ;   in Loop: Header=BB0_2 Depth=1
	v_cvt_f32_u32_e32 v4, s20
	v_cvt_f32_u32_e32 v7, s21
	s_sub_u32 s0, 0, s20
	s_subb_u32 s1, 0, s21
	v_mac_f32_e32 v4, 0x4f800000, v7
	v_rcp_f32_e32 v4, v4
	v_mul_f32_e32 v4, 0x5f7ffffc, v4
	v_mul_f32_e32 v7, 0x2f800000, v4
	v_trunc_f32_e32 v7, v7
	v_mac_f32_e32 v4, 0xcf800000, v7
	v_cvt_u32_f32_e32 v7, v7
	v_cvt_u32_f32_e32 v4, v4
	v_mul_lo_u32 v8, s0, v7
	v_mul_hi_u32 v9, s0, v4
	v_mul_lo_u32 v11, s1, v4
	v_mul_lo_u32 v10, s0, v4
	v_add_u32_e32 v8, v9, v8
	v_add_u32_e32 v8, v8, v11
	v_mul_hi_u32 v9, v4, v10
	v_mul_lo_u32 v11, v4, v8
	v_mul_hi_u32 v13, v4, v8
	v_mul_hi_u32 v12, v7, v10
	v_mul_lo_u32 v10, v7, v10
	v_mul_hi_u32 v14, v7, v8
	v_add_co_u32_e32 v9, vcc, v9, v11
	v_addc_co_u32_e32 v11, vcc, 0, v13, vcc
	v_mul_lo_u32 v8, v7, v8
	v_add_co_u32_e32 v9, vcc, v9, v10
	v_addc_co_u32_e32 v9, vcc, v11, v12, vcc
	v_addc_co_u32_e32 v10, vcc, 0, v14, vcc
	v_add_co_u32_e32 v8, vcc, v9, v8
	v_addc_co_u32_e32 v9, vcc, 0, v10, vcc
	v_add_co_u32_e32 v4, vcc, v4, v8
	v_addc_co_u32_e32 v7, vcc, v7, v9, vcc
	v_mul_lo_u32 v8, s0, v7
	v_mul_hi_u32 v9, s0, v4
	v_mul_lo_u32 v10, s1, v4
	v_mul_lo_u32 v11, s0, v4
	v_add_u32_e32 v8, v9, v8
	v_add_u32_e32 v8, v8, v10
	v_mul_lo_u32 v12, v4, v8
	v_mul_hi_u32 v13, v4, v11
	v_mul_hi_u32 v14, v4, v8
	;; [unrolled: 1-line block ×3, first 2 shown]
	v_mul_lo_u32 v11, v7, v11
	v_mul_hi_u32 v9, v7, v8
	v_add_co_u32_e32 v12, vcc, v13, v12
	v_addc_co_u32_e32 v13, vcc, 0, v14, vcc
	v_mul_lo_u32 v8, v7, v8
	v_add_co_u32_e32 v11, vcc, v12, v11
	v_addc_co_u32_e32 v10, vcc, v13, v10, vcc
	v_addc_co_u32_e32 v9, vcc, 0, v9, vcc
	v_add_co_u32_e32 v8, vcc, v10, v8
	v_addc_co_u32_e32 v9, vcc, 0, v9, vcc
	v_add_co_u32_e32 v4, vcc, v4, v8
	v_addc_co_u32_e32 v9, vcc, v7, v9, vcc
	v_mad_u64_u32 v[7:8], s[0:1], v5, v9, 0
	v_mul_hi_u32 v10, v5, v4
	v_add_co_u32_e32 v11, vcc, v10, v7
	v_addc_co_u32_e32 v12, vcc, 0, v8, vcc
	v_mad_u64_u32 v[7:8], s[0:1], v6, v4, 0
	v_mad_u64_u32 v[9:10], s[0:1], v6, v9, 0
	v_add_co_u32_e32 v4, vcc, v11, v7
	v_addc_co_u32_e32 v4, vcc, v12, v8, vcc
	v_addc_co_u32_e32 v7, vcc, 0, v10, vcc
	v_add_co_u32_e32 v4, vcc, v4, v9
	v_addc_co_u32_e32 v9, vcc, 0, v7, vcc
	v_mul_lo_u32 v10, s21, v4
	v_mul_lo_u32 v11, s20, v9
	v_mad_u64_u32 v[7:8], s[0:1], s20, v4, 0
	v_add3_u32 v8, v8, v11, v10
	v_sub_u32_e32 v10, v6, v8
	v_mov_b32_e32 v11, s21
	v_sub_co_u32_e32 v7, vcc, v5, v7
	v_subb_co_u32_e64 v10, s[0:1], v10, v11, vcc
	v_subrev_co_u32_e64 v11, s[0:1], s20, v7
	v_subbrev_co_u32_e64 v10, s[0:1], 0, v10, s[0:1]
	v_cmp_le_u32_e64 s[0:1], s21, v10
	v_cndmask_b32_e64 v12, 0, -1, s[0:1]
	v_cmp_le_u32_e64 s[0:1], s20, v11
	v_cndmask_b32_e64 v11, 0, -1, s[0:1]
	v_cmp_eq_u32_e64 s[0:1], s21, v10
	v_cndmask_b32_e64 v10, v12, v11, s[0:1]
	v_add_co_u32_e64 v11, s[0:1], 2, v4
	v_addc_co_u32_e64 v12, s[0:1], 0, v9, s[0:1]
	v_add_co_u32_e64 v13, s[0:1], 1, v4
	v_addc_co_u32_e64 v14, s[0:1], 0, v9, s[0:1]
	v_subb_co_u32_e32 v8, vcc, v6, v8, vcc
	v_cmp_ne_u32_e64 s[0:1], 0, v10
	v_cmp_le_u32_e32 vcc, s21, v8
	v_cndmask_b32_e64 v10, v14, v12, s[0:1]
	v_cndmask_b32_e64 v12, 0, -1, vcc
	v_cmp_le_u32_e32 vcc, s20, v7
	v_cndmask_b32_e64 v7, 0, -1, vcc
	v_cmp_eq_u32_e32 vcc, s21, v8
	v_cndmask_b32_e32 v7, v12, v7, vcc
	v_cmp_ne_u32_e32 vcc, 0, v7
	v_cndmask_b32_e64 v7, v13, v11, s[0:1]
	v_cndmask_b32_e32 v8, v9, v10, vcc
	v_cndmask_b32_e32 v7, v4, v7, vcc
.LBB0_4:                                ;   in Loop: Header=BB0_2 Depth=1
	s_andn2_saveexec_b64 s[0:1], s[22:23]
	s_cbranch_execz .LBB0_6
; %bb.5:                                ;   in Loop: Header=BB0_2 Depth=1
	v_cvt_f32_u32_e32 v4, s20
	s_sub_i32 s22, 0, s20
	v_rcp_iflag_f32_e32 v4, v4
	v_mul_f32_e32 v4, 0x4f7ffffe, v4
	v_cvt_u32_f32_e32 v4, v4
	v_mul_lo_u32 v7, s22, v4
	v_mul_hi_u32 v7, v4, v7
	v_add_u32_e32 v4, v4, v7
	v_mul_hi_u32 v4, v5, v4
	v_mul_lo_u32 v7, v4, s20
	v_add_u32_e32 v8, 1, v4
	v_sub_u32_e32 v7, v5, v7
	v_subrev_u32_e32 v9, s20, v7
	v_cmp_le_u32_e32 vcc, s20, v7
	v_cndmask_b32_e32 v7, v7, v9, vcc
	v_cndmask_b32_e32 v4, v4, v8, vcc
	v_add_u32_e32 v8, 1, v4
	v_cmp_le_u32_e32 vcc, s20, v7
	v_cndmask_b32_e32 v7, v4, v8, vcc
	v_mov_b32_e32 v8, v3
.LBB0_6:                                ;   in Loop: Header=BB0_2 Depth=1
	s_or_b64 exec, exec, s[0:1]
	v_mul_lo_u32 v4, v8, s20
	v_mul_lo_u32 v11, v7, s21
	v_mad_u64_u32 v[9:10], s[0:1], v7, s20, 0
	s_load_dwordx2 s[0:1], s[6:7], 0x0
	s_add_u32 s18, s18, 1
	v_add3_u32 v4, v10, v11, v4
	v_sub_co_u32_e32 v5, vcc, v5, v9
	v_subb_co_u32_e32 v4, vcc, v6, v4, vcc
	s_waitcnt lgkmcnt(0)
	v_mul_lo_u32 v4, s0, v4
	v_mul_lo_u32 v6, s1, v5
	v_mad_u64_u32 v[1:2], s[0:1], s0, v5, v[1:2]
	s_addc_u32 s19, s19, 0
	s_add_u32 s6, s6, 8
	v_add3_u32 v2, v6, v2, v4
	v_mov_b32_e32 v4, s10
	v_mov_b32_e32 v5, s11
	s_addc_u32 s7, s7, 0
	v_cmp_ge_u64_e32 vcc, s[18:19], v[4:5]
	s_add_u32 s16, s16, 8
	s_addc_u32 s17, s17, 0
	s_cbranch_vccnz .LBB0_9
; %bb.7:                                ;   in Loop: Header=BB0_2 Depth=1
	v_mov_b32_e32 v5, v7
	v_mov_b32_e32 v6, v8
	s_branch .LBB0_2
.LBB0_8:
	v_mov_b32_e32 v8, v6
	v_mov_b32_e32 v7, v5
.LBB0_9:
	s_lshl_b64 s[0:1], s[10:11], 3
	s_add_u32 s0, s2, s0
	s_addc_u32 s1, s3, s1
	s_load_dwordx2 s[2:3], s[0:1], 0x0
	s_load_dwordx2 s[6:7], s[4:5], 0x20
                                        ; implicit-def: $vgpr68_vgpr69
                                        ; implicit-def: $vgpr64_vgpr65
                                        ; implicit-def: $vgpr60_vgpr61
                                        ; implicit-def: $vgpr52_vgpr53
                                        ; implicit-def: $vgpr18_vgpr19
                                        ; implicit-def: $vgpr10_vgpr11
                                        ; implicit-def: $vgpr22_vgpr23
                                        ; implicit-def: $vgpr26_vgpr27
                                        ; implicit-def: $vgpr30_vgpr31
                                        ; implicit-def: $vgpr34_vgpr35
                                        ; implicit-def: $vgpr38_vgpr39
                                        ; implicit-def: $vgpr44_vgpr45
                                        ; implicit-def: $vgpr48_vgpr49
                                        ; implicit-def: $vgpr56_vgpr57
                                        ; implicit-def: $vgpr72_vgpr73
                                        ; implicit-def: $vgpr14_vgpr15
	s_waitcnt lgkmcnt(0)
	v_mad_u64_u32 v[1:2], s[0:1], s2, v7, v[1:2]
	s_mov_b32 s0, 0x15e75bc
	v_mul_lo_u32 v3, s2, v8
	v_mul_lo_u32 v4, s3, v7
	v_mul_hi_u32 v5, v0, s0
	v_cmp_gt_u64_e32 vcc, s[6:7], v[7:8]
	s_movk_i32 s0, 0x58
	v_add3_u32 v2, v4, v2, v3
	v_mul_u32_u24_e32 v3, 0xbb, v5
	v_sub_u32_e32 v124, v0, v3
	v_cmp_gt_u32_e64 s[0:1], s0, v124
	v_lshlrev_b64 v[90:91], 4, v[1:2]
	s_and_b64 s[2:3], vcc, s[0:1]
                                        ; implicit-def: $vgpr6_vgpr7
	s_and_saveexec_b64 s[4:5], s[2:3]
	s_cbranch_execz .LBB0_11
; %bb.10:
	v_mad_u64_u32 v[0:1], s[2:3], s12, v124, 0
	v_add_u32_e32 v5, 0x58, v124
	v_mov_b32_e32 v4, s15
	v_mad_u64_u32 v[1:2], s[2:3], s13, v124, v[1:2]
	v_mad_u64_u32 v[2:3], s[2:3], s12, v5, 0
	v_add_co_u32_e64 v20, s[2:3], s14, v90
	v_addc_co_u32_e64 v21, s[2:3], v4, v91, s[2:3]
	v_mad_u64_u32 v[3:4], s[2:3], s13, v5, v[3:4]
	v_add_u32_e32 v6, 0xb0, v124
	v_mad_u64_u32 v[4:5], s[2:3], s12, v6, 0
	v_lshlrev_b64 v[0:1], 4, v[0:1]
	v_add_u32_e32 v8, 0x108, v124
	v_add_co_u32_e64 v0, s[2:3], v20, v0
	v_addc_co_u32_e64 v1, s[2:3], v21, v1, s[2:3]
	v_mad_u64_u32 v[5:6], s[2:3], s13, v6, v[5:6]
	v_mad_u64_u32 v[6:7], s[2:3], s12, v8, 0
	v_lshlrev_b64 v[2:3], 4, v[2:3]
	v_add_u32_e32 v10, 0x160, v124
	v_add_co_u32_e64 v2, s[2:3], v20, v2
	v_addc_co_u32_e64 v3, s[2:3], v21, v3, s[2:3]
	v_mad_u64_u32 v[7:8], s[2:3], s13, v8, v[7:8]
	;; [unrolled: 6-line block ×4, first 2 shown]
	v_mad_u64_u32 v[12:13], s[2:3], s12, v14, 0
	v_lshlrev_b64 v[8:9], 4, v[8:9]
	v_add_co_u32_e64 v16, s[2:3], v20, v8
	v_addc_co_u32_e64 v17, s[2:3], v21, v9, s[2:3]
	v_lshlrev_b64 v[8:9], 4, v[10:11]
	v_mov_b32_e32 v10, v13
	v_mad_u64_u32 v[10:11], s[2:3], s13, v14, v[10:11]
	v_add_u32_e32 v11, 0x268, v124
	v_mad_u64_u32 v[14:15], s[2:3], s12, v11, 0
	v_add_co_u32_e64 v18, s[2:3], v20, v8
	v_mov_b32_e32 v13, v10
	v_mov_b32_e32 v10, v15
	v_addc_co_u32_e64 v19, s[2:3], v21, v9, s[2:3]
	v_lshlrev_b64 v[8:9], 4, v[12:13]
	v_mad_u64_u32 v[10:11], s[2:3], s13, v11, v[10:11]
	v_add_u32_e32 v13, 0x2c0, v124
	v_mad_u64_u32 v[11:12], s[2:3], s12, v13, 0
	v_add_co_u32_e64 v40, s[2:3], v20, v8
	v_mov_b32_e32 v15, v10
	v_mov_b32_e32 v10, v12
	v_addc_co_u32_e64 v41, s[2:3], v21, v9, s[2:3]
	v_lshlrev_b64 v[8:9], 4, v[14:15]
	v_mad_u64_u32 v[12:13], s[2:3], s13, v13, v[10:11]
	v_add_u32_e32 v15, 0x318, v124
	v_mad_u64_u32 v[13:14], s[2:3], s12, v15, 0
	v_add_co_u32_e64 v74, s[2:3], v20, v8
	v_mov_b32_e32 v10, v14
	v_addc_co_u32_e64 v75, s[2:3], v21, v9, s[2:3]
	v_lshlrev_b64 v[8:9], 4, v[11:12]
	v_mad_u64_u32 v[10:11], s[2:3], s13, v15, v[10:11]
	v_add_u32_e32 v15, 0x370, v124
	v_mad_u64_u32 v[11:12], s[2:3], s12, v15, 0
	v_add_co_u32_e64 v76, s[2:3], v20, v8
	v_mov_b32_e32 v14, v10
	v_mov_b32_e32 v10, v12
	v_addc_co_u32_e64 v77, s[2:3], v21, v9, s[2:3]
	v_lshlrev_b64 v[8:9], 4, v[13:14]
	v_mad_u64_u32 v[12:13], s[2:3], s13, v15, v[10:11]
	v_add_u32_e32 v15, 0x3c8, v124
	v_mad_u64_u32 v[13:14], s[2:3], s12, v15, 0
	v_add_co_u32_e64 v78, s[2:3], v20, v8
	;; [unrolled: 15-line block ×4, first 2 shown]
	v_mov_b32_e32 v10, v14
	v_addc_co_u32_e64 v87, s[2:3], v21, v9, s[2:3]
	v_lshlrev_b64 v[8:9], 4, v[11:12]
	v_mad_u64_u32 v[10:11], s[2:3], s13, v15, v[10:11]
	v_or_b32_e32 v15, 0x580, v124
	v_mad_u64_u32 v[11:12], s[2:3], s12, v15, 0
	v_add_co_u32_e64 v88, s[2:3], v20, v8
	v_mov_b32_e32 v14, v10
	v_mov_b32_e32 v10, v12
	v_addc_co_u32_e64 v89, s[2:3], v21, v9, s[2:3]
	v_lshlrev_b64 v[8:9], 4, v[13:14]
	v_mad_u64_u32 v[12:13], s[2:3], s13, v15, v[10:11]
	v_add_co_u32_e64 v92, s[2:3], v20, v8
	v_addc_co_u32_e64 v93, s[2:3], v21, v9, s[2:3]
	v_lshlrev_b64 v[8:9], 4, v[11:12]
	v_add_co_u32_e64 v94, s[2:3], v20, v8
	v_addc_co_u32_e64 v95, s[2:3], v21, v9, s[2:3]
	global_load_dwordx4 v[12:15], v[0:1], off
	global_load_dwordx4 v[66:69], v[2:3], off
	;; [unrolled: 1-line block ×15, first 2 shown]
                                        ; kill: killed $vgpr4 killed $vgpr5
                                        ; kill: killed $vgpr82 killed $vgpr83
                                        ; kill: killed $vgpr6 killed $vgpr7
                                        ; kill: killed $vgpr84 killed $vgpr85
                                        ; kill: killed $vgpr16 killed $vgpr17
                                        ; kill: killed $vgpr86 killed $vgpr87
                                        ; kill: killed $vgpr18 killed $vgpr19
                                        ; kill: killed $vgpr88 killed $vgpr89
                                        ; kill: killed $vgpr40 killed $vgpr41
                                        ; kill: killed $vgpr74 killed $vgpr75
                                        ; kill: killed $vgpr76 killed $vgpr77
                                        ; kill: killed $vgpr0 killed $vgpr1
                                        ; kill: killed $vgpr78 killed $vgpr79
                                        ; kill: killed $vgpr2 killed $vgpr3
                                        ; kill: killed $vgpr80 killed $vgpr81
	global_load_dwordx4 v[16:19], v[92:93], off
	global_load_dwordx4 v[4:7], v[94:95], off
.LBB0_11:
	s_or_b64 exec, exec, s[4:5]
	s_waitcnt vmcnt(0)
	v_add_f64 v[40:41], v[68:69], -v[6:7]
	s_mov_b32 s6, 0xacd6c6b4
	s_mov_b32 s7, 0xbfc7851a
	v_add_f64 v[74:75], v[66:67], v[4:5]
	v_add_f64 v[76:77], v[72:73], -v[18:19]
	s_mov_b32 s2, 0x7faef3
	s_mov_b32 s18, 0x5d8e7cdc
	;; [unrolled: 1-line block ×3, first 2 shown]
	v_mul_f64 v[0:1], v[40:41], s[6:7]
	s_mov_b32 s19, 0x3fd71e95
	v_add_f64 v[78:79], v[16:17], v[70:71]
	v_add_f64 v[80:81], v[64:65], -v[10:11]
	v_mul_f64 v[2:3], v[76:77], s[18:19]
	s_mov_b32 s4, 0x370991
	s_mov_b32 s20, 0x4363dd80
	;; [unrolled: 1-line block ×3, first 2 shown]
	v_fma_f64 v[84:85], v[74:75], s[2:3], v[0:1]
	v_fma_f64 v[0:1], v[74:75], s[2:3], -v[0:1]
	s_mov_b32 s21, 0xbfe0d888
	v_add_f64 v[82:83], v[62:63], v[8:9]
	v_mul_f64 v[86:87], v[80:81], s[20:21]
	v_fma_f64 v[88:89], v[78:79], s[4:5], v[2:3]
	v_fma_f64 v[2:3], v[78:79], s[4:5], -v[2:3]
	s_mov_b32 s10, 0x910ea3b9
	v_add_f64 v[92:93], v[84:85], v[12:13]
	v_add_f64 v[0:1], v[0:1], v[12:13]
	v_add_f64 v[84:85], v[60:61], -v[22:23]
	s_mov_b32 s22, 0x2a9d6da3
	s_mov_b32 s11, 0xbfeb34fa
	;; [unrolled: 1-line block ×3, first 2 shown]
	v_fma_f64 v[94:95], v[82:83], s[10:11], v[86:87]
	v_fma_f64 v[96:97], v[82:83], s[10:11], -v[86:87]
	v_add_f64 v[92:93], v[88:89], v[92:93]
	v_add_f64 v[0:1], v[2:3], v[0:1]
	;; [unrolled: 1-line block ×3, first 2 shown]
	v_mul_f64 v[2:3], v[84:85], s[22:23]
	v_mul_f64 v[122:123], v[40:41], s[20:21]
	s_mov_b32 s16, 0x75d4884
	s_mov_b32 s36, 0x7c9e640b
	;; [unrolled: 1-line block ×4, first 2 shown]
	v_add_f64 v[92:93], v[94:95], v[92:93]
	v_add_f64 v[0:1], v[96:97], v[0:1]
	v_fma_f64 v[94:95], v[88:89], s[16:17], v[2:3]
	v_fma_f64 v[2:3], v[88:89], s[16:17], -v[2:3]
	v_fma_f64 v[100:101], v[74:75], s[10:11], -v[122:123]
	v_mul_f64 v[120:121], v[76:77], s[36:37]
	s_mov_b32 s26, 0x2b2883cd
	s_mov_b32 s44, 0xeb564b22
	;; [unrolled: 1-line block ×4, first 2 shown]
	v_add_f64 v[86:87], v[56:57], -v[26:27]
	v_add_f64 v[0:1], v[2:3], v[0:1]
	v_add_f64 v[2:3], v[100:101], v[12:13]
	v_fma_f64 v[100:101], v[78:79], s[26:27], -v[120:121]
	v_mul_f64 v[112:113], v[80:81], s[44:45]
	s_mov_b32 s24, 0x6c9a05f6
	s_mov_b32 s30, 0x3259b75e
	;; [unrolled: 1-line block ×6, first 2 shown]
	v_add_f64 v[96:97], v[24:25], v[54:55]
	v_mul_f64 v[98:99], v[86:87], s[38:39]
	v_add_f64 v[92:93], v[94:95], v[92:93]
	v_add_f64 v[94:95], v[52:53], -v[30:31]
	v_add_f64 v[2:3], v[100:101], v[2:3]
	v_fma_f64 v[100:101], v[82:83], s[30:31], -v[112:113]
	v_mul_f64 v[114:115], v[84:85], s[24:25]
	s_mov_b32 s28, 0x6ed5f1bb
	s_mov_b32 s29, 0xbfe348c8
	;; [unrolled: 1-line block ×4, first 2 shown]
	v_fma_f64 v[104:105], v[96:97], s[28:29], v[98:99]
	v_fma_f64 v[98:99], v[96:97], s[28:29], -v[98:99]
	v_add_f64 v[102:103], v[50:51], v[28:29]
	v_mul_f64 v[106:107], v[94:95], s[36:37]
	v_add_f64 v[2:3], v[100:101], v[2:3]
	v_fma_f64 v[100:101], v[88:89], s[28:29], -v[114:115]
	v_mul_f64 v[116:117], v[86:87], s[46:47]
	v_mul_f64 v[118:119], v[94:95], s[6:7]
	v_add_f64 v[92:93], v[104:105], v[92:93]
	v_add_f64 v[0:1], v[98:99], v[0:1]
	v_add_f64 v[98:99], v[48:49], -v[34:35]
	v_fma_f64 v[108:109], v[102:103], s[26:27], v[106:107]
	s_mov_b32 s40, 0x923c349f
	v_add_f64 v[2:3], v[100:101], v[2:3]
	v_fma_f64 v[110:111], v[96:97], s[4:5], -v[116:117]
	s_mov_b32 s41, 0xbfeec746
	v_fma_f64 v[106:107], v[102:103], s[26:27], -v[106:107]
	v_add_f64 v[104:105], v[32:33], v[46:47]
	v_mul_f64 v[125:126], v[98:99], s[40:41]
	v_add_f64 v[92:93], v[108:109], v[92:93]
	v_add_f64 v[100:101], v[44:45], -v[38:39]
	v_mul_f64 v[108:109], v[98:99], s[22:23]
	v_add_f64 v[2:3], v[110:111], v[2:3]
	v_fma_f64 v[110:111], v[102:103], s[2:3], -v[118:119]
	s_mov_b32 s34, 0xc61f0d01
	s_mov_b32 s35, 0xbfd183b1
	s_mov_b32 s43, 0x3fefdd0d
	s_mov_b32 s42, s44
	v_add_f64 v[0:1], v[106:107], v[0:1]
	v_fma_f64 v[127:128], v[104:105], s[34:35], v[125:126]
	v_fma_f64 v[125:126], v[104:105], s[34:35], -v[125:126]
	v_add_f64 v[106:107], v[36:37], v[42:43]
	v_mul_f64 v[129:130], v[100:101], s[42:43]
	v_add_f64 v[2:3], v[110:111], v[2:3]
	v_fma_f64 v[131:132], v[104:105], s[16:17], -v[108:109]
	v_mul_f64 v[110:111], v[100:101], s[40:41]
	v_add_f64 v[92:93], v[127:128], v[92:93]
	v_add_f64 v[125:126], v[125:126], v[0:1]
	v_fma_f64 v[0:1], v[106:107], s[30:31], v[129:130]
	v_fma_f64 v[127:128], v[106:107], s[30:31], -v[129:130]
	v_add_f64 v[129:130], v[131:132], v[2:3]
	v_fma_f64 v[131:132], v[106:107], s[34:35], -v[110:111]
	v_add_f64 v[0:1], v[0:1], v[92:93]
	v_add_f64 v[2:3], v[127:128], v[125:126]
	;; [unrolled: 1-line block ×3, first 2 shown]
	s_and_saveexec_b64 s[48:49], s[0:1]
	s_cbranch_execz .LBB0_13
; %bb.12:
	v_mul_f64 v[125:126], v[74:75], s[10:11]
	v_mul_f64 v[127:128], v[78:79], s[26:27]
	;; [unrolled: 1-line block ×4, first 2 shown]
	s_mov_b32 s57, 0x3feec746
	s_mov_b32 s56, s40
	v_mul_f64 v[131:132], v[88:89], s[28:29]
	v_mul_f64 v[147:148], v[82:83], s[4:5]
	v_add_f64 v[122:123], v[122:123], v[125:126]
	v_add_f64 v[120:121], v[120:121], v[127:128]
	v_mul_f64 v[127:128], v[78:79], s[34:35]
	v_fma_f64 v[145:146], v[40:41], s[24:25], v[141:142]
	v_fma_f64 v[141:142], v[40:41], s[38:39], v[141:142]
	v_add_f64 v[112:113], v[112:113], v[129:130]
	v_mul_f64 v[133:134], v[96:97], s[4:5]
	v_mul_f64 v[149:150], v[88:89], s[10:11]
	v_add_f64 v[122:123], v[122:123], v[12:13]
	v_add_f64 v[114:115], v[114:115], v[131:132]
	s_mov_b32 s55, 0x3fe0d888
	v_add_f64 v[129:130], v[145:146], v[12:13]
	v_add_f64 v[141:142], v[141:142], v[12:13]
	s_mov_b32 s54, s20
	v_mul_f64 v[135:136], v[102:103], s[2:3]
	v_mul_f64 v[145:146], v[96:97], s[30:31]
	v_add_f64 v[120:121], v[120:121], v[122:123]
	v_fma_f64 v[122:123], v[76:77], s[40:41], v[127:128]
	v_fma_f64 v[127:128], v[76:77], s[56:57], v[127:128]
	v_add_f64 v[116:117], v[116:117], v[133:134]
	v_mul_f64 v[137:138], v[104:105], s[16:17]
	s_mov_b32 s59, 0xbfe58eea
	v_add_f64 v[118:119], v[118:119], v[135:136]
	s_mov_b32 s58, s22
	v_add_f64 v[112:113], v[112:113], v[120:121]
	v_fma_f64 v[120:121], v[80:81], s[18:19], v[147:148]
	v_add_f64 v[122:123], v[122:123], v[129:130]
	v_fma_f64 v[129:130], v[80:81], s[46:47], v[147:148]
	v_add_f64 v[127:128], v[127:128], v[141:142]
	v_mul_f64 v[139:140], v[106:107], s[34:35]
	v_mul_f64 v[143:144], v[104:105], s[2:3]
	v_add_f64 v[108:109], v[108:109], v[137:138]
	v_add_f64 v[112:113], v[114:115], v[112:113]
	v_fma_f64 v[114:115], v[84:85], s[54:55], v[149:150]
	v_add_f64 v[120:121], v[120:121], v[122:123]
	v_fma_f64 v[122:123], v[84:85], s[20:21], v[149:150]
	v_add_f64 v[127:128], v[129:130], v[127:128]
	v_mul_f64 v[129:130], v[102:103], s[16:17]
	s_mov_b32 s51, 0x3fc7851a
	s_mov_b32 s50, s6
	v_add_f64 v[112:113], v[116:117], v[112:113]
	v_fma_f64 v[116:117], v[86:87], s[44:45], v[145:146]
	v_add_f64 v[114:115], v[114:115], v[120:121]
	v_fma_f64 v[120:121], v[86:87], s[42:43], v[145:146]
	v_add_f64 v[122:123], v[122:123], v[127:128]
	v_mul_f64 v[127:128], v[74:75], s[34:35]
	v_mul_f64 v[125:126], v[106:107], s[26:27]
	v_add_f64 v[110:111], v[110:111], v[139:140]
	v_add_f64 v[112:113], v[118:119], v[112:113]
	v_fma_f64 v[118:119], v[94:95], s[22:23], v[129:130]
	v_add_f64 v[114:115], v[116:117], v[114:115]
	v_fma_f64 v[116:117], v[94:95], s[58:59], v[129:130]
	v_add_f64 v[120:121], v[120:121], v[122:123]
	v_mul_f64 v[122:123], v[78:79], s[10:11]
	v_fma_f64 v[129:130], v[40:41], s[56:57], v[127:128]
	s_mov_b32 s53, 0xbfeca52d
	v_add_f64 v[108:109], v[108:109], v[112:113]
	v_fma_f64 v[112:113], v[98:99], s[50:51], v[143:144]
	v_add_f64 v[114:115], v[118:119], v[114:115]
	v_fma_f64 v[118:119], v[98:99], s[6:7], v[143:144]
	v_add_f64 v[116:117], v[116:117], v[120:121]
	v_mul_f64 v[120:121], v[82:83], s[16:17]
	v_fma_f64 v[131:132], v[76:77], s[20:21], v[122:123]
	v_add_f64 v[129:130], v[129:130], v[12:13]
	s_mov_b32 s52, s36
	v_fma_f64 v[133:134], v[100:101], s[52:53], v[125:126]
	v_add_f64 v[112:113], v[112:113], v[114:115]
	v_fma_f64 v[114:115], v[100:101], s[36:37], v[125:126]
	v_add_f64 v[116:117], v[118:119], v[116:117]
	v_add_f64 v[108:109], v[110:111], v[108:109]
	v_mul_f64 v[110:111], v[88:89], s[26:27]
	v_fma_f64 v[118:119], v[80:81], s[58:59], v[120:121]
	v_add_f64 v[125:126], v[131:132], v[129:130]
	v_mul_f64 v[131:132], v[74:75], s[30:31]
	v_fma_f64 v[127:128], v[40:41], s[40:41], v[127:128]
	v_add_f64 v[112:113], v[133:134], v[112:113]
	v_add_f64 v[114:115], v[114:115], v[116:117]
	v_mul_f64 v[116:117], v[96:97], s[2:3]
	v_fma_f64 v[133:134], v[84:85], s[36:37], v[110:111]
	v_mul_f64 v[135:136], v[78:79], s[2:3]
	v_add_f64 v[118:119], v[118:119], v[125:126]
	v_fma_f64 v[137:138], v[40:41], s[42:43], v[131:132]
	v_fma_f64 v[122:123], v[76:77], s[54:55], v[122:123]
	v_add_f64 v[127:128], v[127:128], v[12:13]
	v_mul_f64 v[139:140], v[102:103], s[30:31]
	v_fma_f64 v[141:142], v[86:87], s[50:51], v[116:117]
	v_fma_f64 v[120:121], v[80:81], s[22:23], v[120:121]
	;; [unrolled: 1-line block ×3, first 2 shown]
	v_add_f64 v[118:119], v[133:134], v[118:119]
	v_mul_f64 v[133:134], v[82:83], s[34:35]
	v_add_f64 v[137:138], v[137:138], v[12:13]
	v_add_f64 v[122:123], v[122:123], v[127:128]
	v_mul_f64 v[145:146], v[104:105], s[4:5]
	v_fma_f64 v[147:148], v[94:95], s[44:45], v[139:140]
	v_mul_f64 v[127:128], v[88:89], s[4:5]
	v_fma_f64 v[131:132], v[40:41], s[44:45], v[131:132]
	v_add_f64 v[118:119], v[141:142], v[118:119]
	v_fma_f64 v[141:142], v[80:81], s[40:41], v[133:134]
	v_add_f64 v[137:138], v[143:144], v[137:138]
	;; [unrolled: 2-line block ×3, first 2 shown]
	v_mul_f64 v[129:130], v[106:107], s[28:29]
	v_fma_f64 v[143:144], v[98:99], s[18:19], v[145:146]
	v_mul_f64 v[122:123], v[96:97], s[26:27]
	v_add_f64 v[118:119], v[147:148], v[118:119]
	v_fma_f64 v[147:148], v[84:85], s[46:47], v[127:128]
	v_add_f64 v[137:138], v[141:142], v[137:138]
	v_fma_f64 v[135:136], v[76:77], s[6:7], v[135:136]
	;; [unrolled: 2-line block ×4, first 2 shown]
	v_add_f64 v[118:119], v[143:144], v[118:119]
	v_mul_f64 v[120:121], v[102:103], s[10:11]
	v_fma_f64 v[141:142], v[86:87], s[36:37], v[122:123]
	v_add_f64 v[137:138], v[147:148], v[137:138]
	v_fma_f64 v[133:134], v[80:81], s[56:57], v[133:134]
	v_add_f64 v[131:132], v[135:136], v[131:132]
	;; [unrolled: 2-line block ×3, first 2 shown]
	v_add_f64 v[116:117], v[125:126], v[118:119]
	v_mul_f64 v[118:119], v[104:105], s[28:29]
	v_fma_f64 v[125:126], v[94:95], s[54:55], v[120:121]
	v_add_f64 v[137:138], v[141:142], v[137:138]
	v_fma_f64 v[127:128], v[84:85], s[18:19], v[127:128]
	v_add_f64 v[131:132], v[133:134], v[131:132]
	;; [unrolled: 2-line block ×3, first 2 shown]
	v_mul_f64 v[135:136], v[74:75], s[26:27]
	v_mul_f64 v[139:140], v[106:107], s[16:17]
	v_fma_f64 v[141:142], v[98:99], s[38:39], v[118:119]
	v_add_f64 v[125:126], v[125:126], v[137:138]
	v_fma_f64 v[122:123], v[86:87], s[52:53], v[122:123]
	v_add_f64 v[127:128], v[127:128], v[131:132]
	v_fma_f64 v[129:130], v[100:101], s[38:39], v[129:130]
	v_mul_f64 v[131:132], v[78:79], s[28:29]
	v_fma_f64 v[137:138], v[40:41], s[36:37], v[135:136]
	v_add_f64 v[110:111], v[133:134], v[110:111]
	v_fma_f64 v[133:134], v[100:101], s[58:59], v[139:140]
	v_add_f64 v[125:126], v[141:142], v[125:126]
	;; [unrolled: 2-line block ×3, first 2 shown]
	v_mul_f64 v[127:128], v[82:83], s[2:3]
	v_fma_f64 v[141:142], v[76:77], s[24:25], v[131:132]
	v_add_f64 v[137:138], v[137:138], v[12:13]
	v_add_f64 v[110:111], v[129:130], v[110:111]
	v_fma_f64 v[129:130], v[40:41], s[52:53], v[135:136]
	v_add_f64 v[125:126], v[133:134], v[125:126]
	v_fma_f64 v[131:132], v[76:77], s[38:39], v[131:132]
	v_fma_f64 v[118:119], v[98:99], s[24:25], v[118:119]
	;; [unrolled: 1-line block ×3, first 2 shown]
	v_add_f64 v[120:121], v[120:121], v[122:123]
	v_add_f64 v[135:136], v[141:142], v[137:138]
	v_fma_f64 v[137:138], v[100:101], s[22:23], v[139:140]
	v_add_f64 v[129:130], v[129:130], v[12:13]
	v_add_f64 v[139:140], v[66:67], v[12:13]
	v_mul_f64 v[122:123], v[88:89], s[34:35]
	v_fma_f64 v[127:128], v[80:81], s[50:51], v[127:128]
	v_mul_f64 v[143:144], v[74:75], s[16:17]
	v_add_f64 v[118:119], v[118:119], v[120:121]
	v_add_f64 v[133:134], v[133:134], v[135:136]
	v_mul_f64 v[120:121], v[96:97], s[16:17]
	v_add_f64 v[129:130], v[131:132], v[129:130]
	v_add_f64 v[135:136], v[70:71], v[139:140]
	v_fma_f64 v[141:142], v[84:85], s[40:41], v[122:123]
	v_fma_f64 v[122:123], v[84:85], s[56:57], v[122:123]
	v_mul_f64 v[139:140], v[102:103], s[4:5]
	v_fma_f64 v[147:148], v[40:41], s[22:23], v[143:144]
	v_mul_f64 v[74:75], v[74:75], s[4:5]
	v_fma_f64 v[145:146], v[86:87], s[58:59], v[120:121]
	v_add_f64 v[127:128], v[127:128], v[129:130]
	v_add_f64 v[135:136], v[62:63], v[135:136]
	;; [unrolled: 1-line block ×3, first 2 shown]
	v_mul_f64 v[141:142], v[78:79], s[30:31]
	v_fma_f64 v[120:121], v[86:87], s[22:23], v[120:121]
	v_mul_f64 v[129:130], v[104:105], s[30:31]
	v_fma_f64 v[149:150], v[94:95], s[18:19], v[139:140]
	v_add_f64 v[147:148], v[147:148], v[12:13]
	v_add_f64 v[122:123], v[122:123], v[127:128]
	;; [unrolled: 1-line block ×4, first 2 shown]
	v_mul_f64 v[127:128], v[82:83], s[28:29]
	v_fma_f64 v[145:146], v[76:77], s[42:43], v[141:142]
	v_fma_f64 v[139:140], v[94:95], s[46:47], v[139:140]
	;; [unrolled: 1-line block ×4, first 2 shown]
	v_add_f64 v[120:121], v[120:121], v[122:123]
	v_add_f64 v[135:136], v[54:55], v[135:136]
	v_add_f64 v[133:134], v[149:150], v[133:134]
	v_mul_f64 v[122:123], v[88:89], s[2:3]
	v_fma_f64 v[149:150], v[80:81], s[24:25], v[127:128]
	v_add_f64 v[145:146], v[145:146], v[147:148]
	v_mul_f64 v[78:79], v[78:79], s[16:17]
	v_fma_f64 v[159:160], v[40:41], s[46:47], v[74:75]
	v_add_f64 v[120:121], v[139:140], v[120:121]
	v_add_f64 v[135:136], v[50:51], v[135:136]
	;; [unrolled: 1-line block ×3, first 2 shown]
	v_mul_f64 v[139:140], v[96:97], s[10:11]
	v_fma_f64 v[151:152], v[84:85], s[50:51], v[122:123]
	v_add_f64 v[145:146], v[149:150], v[145:146]
	v_fma_f64 v[143:144], v[40:41], s[58:59], v[143:144]
	v_mul_f64 v[82:83], v[82:83], s[26:27]
	v_add_f64 v[120:121], v[129:130], v[120:121]
	v_add_f64 v[129:130], v[46:47], v[135:136]
	v_fma_f64 v[40:41], v[40:41], s[18:19], v[74:75]
	v_fma_f64 v[135:136], v[86:87], s[20:21], v[139:140]
	;; [unrolled: 1-line block ×3, first 2 shown]
	v_add_f64 v[145:146], v[151:152], v[145:146]
	v_fma_f64 v[141:142], v[76:77], s[44:45], v[141:142]
	v_add_f64 v[143:144], v[143:144], v[12:13]
	v_mul_f64 v[88:89], v[88:89], s[30:31]
	v_add_f64 v[129:130], v[42:43], v[129:130]
	v_fma_f64 v[76:77], v[76:77], s[22:23], v[78:79]
	v_fma_f64 v[127:128], v[80:81], s[38:39], v[127:128]
	v_mul_f64 v[96:97], v[96:97], s[34:35]
	v_add_f64 v[135:136], v[135:136], v[145:146]
	v_add_f64 v[145:146], v[159:160], v[12:13]
	;; [unrolled: 1-line block ×3, first 2 shown]
	v_fma_f64 v[40:41], v[80:81], s[52:53], v[82:83]
	v_add_f64 v[129:130], v[36:37], v[129:130]
	v_fma_f64 v[80:81], v[80:81], s[36:37], v[82:83]
	v_fma_f64 v[122:123], v[84:85], s[6:7], v[122:123]
	v_mul_f64 v[153:154], v[102:103], s[34:35]
	v_mul_f64 v[102:103], v[102:103], s[28:29]
	v_add_f64 v[74:75], v[74:75], v[145:146]
	v_add_f64 v[12:13], v[76:77], v[12:13]
	v_fma_f64 v[76:77], v[84:85], s[44:45], v[88:89]
	v_add_f64 v[78:79], v[32:33], v[129:130]
	v_add_f64 v[129:130], v[141:142], v[143:144]
	v_fma_f64 v[84:85], v[84:85], s[42:43], v[88:89]
	v_fma_f64 v[82:83], v[86:87], s[54:55], v[139:140]
	v_mul_f64 v[88:89], v[104:105], s[10:11]
	v_add_f64 v[40:41], v[40:41], v[74:75]
	v_add_f64 v[12:13], v[80:81], v[12:13]
	v_fma_f64 v[80:81], v[86:87], s[40:41], v[96:97]
	v_add_f64 v[74:75], v[28:29], v[78:79]
	v_add_f64 v[78:79], v[127:128], v[129:130]
	v_fma_f64 v[86:87], v[86:87], s[56:57], v[96:97]
	v_mul_f64 v[149:150], v[104:105], s[26:27]
	v_fma_f64 v[157:158], v[94:95], s[40:41], v[153:154]
	v_add_f64 v[40:41], v[76:77], v[40:41]
	v_add_f64 v[12:13], v[84:85], v[12:13]
	v_fma_f64 v[84:85], v[94:95], s[38:39], v[102:103]
	v_add_f64 v[74:75], v[24:25], v[74:75]
	v_add_f64 v[76:77], v[122:123], v[78:79]
	v_fma_f64 v[78:79], v[94:95], s[56:57], v[153:154]
	v_fma_f64 v[94:95], v[94:95], s[24:25], v[102:103]
	v_mul_f64 v[131:132], v[106:107], s[10:11]
	v_add_f64 v[40:41], v[80:81], v[40:41]
	v_add_f64 v[12:13], v[86:87], v[12:13]
	v_fma_f64 v[86:87], v[98:99], s[20:21], v[88:89]
	v_add_f64 v[74:75], v[20:21], v[74:75]
	v_add_f64 v[76:77], v[82:83], v[76:77]
	v_mul_f64 v[82:83], v[106:107], s[2:3]
	v_mul_f64 v[151:152], v[106:107], s[4:5]
	v_fma_f64 v[80:81], v[98:99], s[36:37], v[149:150]
	v_add_f64 v[40:41], v[84:85], v[40:41]
	v_fma_f64 v[155:156], v[98:99], s[52:53], v[149:150]
	v_fma_f64 v[88:89], v[98:99], s[54:55], v[88:89]
	v_add_f64 v[74:75], v[8:9], v[74:75]
	v_add_f64 v[76:77], v[78:79], v[76:77]
	;; [unrolled: 1-line block ×4, first 2 shown]
	v_fma_f64 v[94:95], v[100:101], s[6:7], v[82:83]
	v_add_f64 v[40:41], v[86:87], v[40:41]
	v_fma_f64 v[147:148], v[100:101], s[54:55], v[131:132]
	v_fma_f64 v[131:132], v[100:101], s[20:21], v[131:132]
	v_add_f64 v[74:75], v[16:17], v[74:75]
	v_fma_f64 v[84:85], v[100:101], s[18:19], v[151:152]
	v_add_f64 v[76:77], v[80:81], v[76:77]
	;; [unrolled: 2-line block ×4, first 2 shown]
	v_add_f64 v[40:41], v[94:95], v[40:41]
	v_add_f64 v[74:75], v[4:5], v[74:75]
	;; [unrolled: 1-line block ×5, first 2 shown]
	s_movk_i32 s33, 0x88
	v_add_f64 v[88:89], v[147:148], v[133:134]
	v_add_f64 v[78:79], v[80:81], v[78:79]
	v_mad_u32_u24 v80, v124, s33, 0
	v_add_f64 v[12:13], v[82:83], v[12:13]
	ds_write2_b64 v80, v[74:75], v[40:41] offset1:1
	ds_write2_b64 v80, v[76:77], v[86:87] offset0:2 offset1:3
	ds_write2_b64 v80, v[84:85], v[110:111] offset0:4 offset1:5
	;; [unrolled: 1-line block ×7, first 2 shown]
	ds_write_b64 v80, v[12:13] offset:128
.LBB0_13:
	s_or_b64 exec, exec, s[48:49]
	v_add_f64 v[110:111], v[66:67], -v[4:5]
	v_add_f64 v[106:107], v[68:69], v[6:7]
	v_add_f64 v[108:109], v[70:71], -v[16:17]
	v_add_f64 v[104:105], v[18:19], v[72:73]
	v_add_f64 v[100:101], v[62:63], -v[8:9]
	v_add_f64 v[94:95], v[58:59], -v[20:21]
	v_add_f64 v[98:99], v[64:65], v[10:11]
	v_add_f64 v[62:63], v[54:55], -v[24:25]
	v_mul_f64 v[112:113], v[110:111], s[20:21]
	v_mul_f64 v[4:5], v[110:111], s[6:7]
	v_mul_f64 v[114:115], v[108:109], s[36:37]
	v_mul_f64 v[8:9], v[108:109], s[18:19]
	v_add_f64 v[50:51], v[50:51], -v[28:29]
	v_add_f64 v[16:17], v[46:47], -v[32:33]
	v_mul_f64 v[102:103], v[100:101], s[44:45]
	v_mul_f64 v[24:25], v[100:101], s[20:21]
	v_fma_f64 v[12:13], v[106:107], s[10:11], v[112:113]
	v_fma_f64 v[20:21], v[106:107], s[2:3], -v[4:5]
	v_fma_f64 v[4:5], v[106:107], s[2:3], v[4:5]
	v_fma_f64 v[28:29], v[104:105], s[26:27], v[114:115]
	v_fma_f64 v[32:33], v[104:105], s[4:5], -v[8:9]
	v_fma_f64 v[8:9], v[104:105], s[4:5], v[8:9]
	v_add_f64 v[70:71], v[60:61], v[22:23]
	v_mul_f64 v[96:97], v[94:95], s[24:25]
	v_add_f64 v[12:13], v[12:13], v[14:15]
	v_add_f64 v[20:21], v[20:21], v[14:15]
	;; [unrolled: 1-line block ×3, first 2 shown]
	v_mul_f64 v[40:41], v[94:95], s[22:23]
	v_fma_f64 v[46:47], v[98:99], s[30:31], v[102:103]
	v_fma_f64 v[74:75], v[98:99], s[10:11], -v[24:25]
	v_fma_f64 v[24:25], v[98:99], s[10:11], v[24:25]
	v_add_f64 v[58:59], v[26:27], v[56:57]
	v_add_f64 v[12:13], v[12:13], v[28:29]
	v_add_f64 v[20:21], v[20:21], v[32:33]
	v_add_f64 v[4:5], v[4:5], v[8:9]
	v_mul_f64 v[66:67], v[62:63], s[46:47]
	v_mul_f64 v[28:29], v[62:63], s[38:39]
	v_fma_f64 v[76:77], v[70:71], s[28:29], v[96:97]
	v_fma_f64 v[78:79], v[70:71], s[16:17], -v[40:41]
	v_fma_f64 v[40:41], v[70:71], s[16:17], v[40:41]
	v_add_f64 v[8:9], v[46:47], v[12:13]
	v_add_f64 v[12:13], v[74:75], v[20:21]
	;; [unrolled: 1-line block ×4, first 2 shown]
	v_mul_f64 v[32:33], v[50:51], s[6:7]
	v_mul_f64 v[46:47], v[50:51], s[36:37]
	v_fma_f64 v[74:75], v[58:59], s[4:5], v[66:67]
	v_fma_f64 v[80:81], v[58:59], s[28:29], -v[28:29]
	v_add_f64 v[8:9], v[76:77], v[8:9]
	v_add_f64 v[12:13], v[78:79], v[12:13]
	v_fma_f64 v[28:29], v[58:59], s[28:29], v[28:29]
	v_add_f64 v[4:5], v[40:41], v[4:5]
	v_add_f64 v[20:21], v[34:35], v[48:49]
	v_mul_f64 v[24:25], v[16:17], s[22:23]
	v_fma_f64 v[76:77], v[54:55], s[2:3], v[32:33]
	v_fma_f64 v[78:79], v[54:55], s[26:27], -v[46:47]
	v_add_f64 v[8:9], v[74:75], v[8:9]
	v_add_f64 v[40:41], v[80:81], v[12:13]
	v_mul_f64 v[74:75], v[16:17], s[40:41]
	v_add_f64 v[12:13], v[42:43], -v[36:37]
	v_fma_f64 v[36:37], v[54:55], s[26:27], v[46:47]
	v_add_f64 v[28:29], v[28:29], v[4:5]
	v_fma_f64 v[42:43], v[20:21], s[16:17], v[24:25]
	v_add_f64 v[4:5], v[38:39], v[44:45]
	v_add_f64 v[46:47], v[76:77], v[8:9]
	;; [unrolled: 1-line block ×3, first 2 shown]
	v_fma_f64 v[76:77], v[20:21], s[34:35], -v[74:75]
	v_mul_f64 v[8:9], v[12:13], s[40:41]
	v_mul_f64 v[78:79], v[12:13], s[42:43]
	v_fma_f64 v[74:75], v[20:21], s[34:35], v[74:75]
	v_add_f64 v[28:29], v[36:37], v[28:29]
	v_lshl_add_u32 v116, v124, 3, 0
	v_add_f64 v[36:37], v[42:43], v[46:47]
	v_add_u32_e32 v117, 0xa00, v116
	v_add_f64 v[40:41], v[76:77], v[40:41]
	v_fma_f64 v[42:43], v[4:5], s[34:35], v[8:9]
	v_fma_f64 v[46:47], v[4:5], s[30:31], -v[78:79]
	v_fma_f64 v[76:77], v[4:5], s[30:31], v[78:79]
	v_add_f64 v[28:29], v[74:75], v[28:29]
	v_add_u32_e32 v118, 0x1600, v116
	v_add_u32_e32 v119, 0x2200, v116
	s_waitcnt lgkmcnt(0)
	s_barrier
	v_add_f64 v[36:37], v[42:43], v[36:37]
	v_add_f64 v[40:41], v[46:47], v[40:41]
	;; [unrolled: 1-line block ×3, first 2 shown]
	ds_read2_b64 v[78:81], v116 offset1:187
	ds_read2_b64 v[86:89], v117 offset0:54 offset1:241
	ds_read2_b64 v[74:77], v118 offset0:44 offset1:231
	;; [unrolled: 1-line block ×3, first 2 shown]
	s_waitcnt lgkmcnt(0)
	s_barrier
	s_and_saveexec_b64 s[6:7], s[0:1]
	s_cbranch_execz .LBB0_15
; %bb.14:
	v_add_f64 v[28:29], v[68:69], v[14:15]
	v_mul_f64 v[120:121], v[104:105], s[26:27]
	v_mul_f64 v[122:123], v[98:99], s[30:31]
	s_mov_b32 s18, 0x5d8e7cdc
	s_mov_b32 s30, 0x2a9d6da3
	;; [unrolled: 1-line block ×4, first 2 shown]
	v_mul_f64 v[127:128], v[58:59], s[4:5]
	v_add_f64 v[72:73], v[72:73], v[28:29]
	s_mov_b32 s19, 0xbfd71e95
	s_mov_b32 s31, 0xbfe58eea
	;; [unrolled: 1-line block ×6, first 2 shown]
	v_mul_f64 v[68:69], v[106:107], s[10:11]
	v_add_f64 v[64:65], v[64:65], v[72:73]
	v_mul_f64 v[72:73], v[110:111], s[40:41]
	v_mul_f64 v[129:130], v[54:55], s[2:3]
	;; [unrolled: 1-line block ×4, first 2 shown]
	s_mov_b32 s10, 0x370991
	s_mov_b32 s2, 0x2b2883cd
	;; [unrolled: 1-line block ×3, first 2 shown]
	v_add_f64 v[60:61], v[60:61], v[64:65]
	v_mul_f64 v[64:65], v[110:111], s[26:27]
	s_mov_b32 s36, 0xc61f0d01
	s_mov_b32 s16, 0x6ed5f1bb
	;; [unrolled: 1-line block ×6, first 2 shown]
	v_add_f64 v[56:57], v[56:57], v[60:61]
	v_mul_f64 v[60:61], v[110:111], s[4:5]
	s_mov_b32 s25, 0x3fb79ee6
	s_mov_b32 s37, 0xbfd183b1
	;; [unrolled: 1-line block ×6, first 2 shown]
	v_add_f64 v[52:53], v[52:53], v[56:57]
	v_mul_f64 v[56:57], v[110:111], s[18:19]
	s_mov_b32 s42, s40
	v_mul_f64 v[131:132], v[108:109], s[30:31]
	v_mul_f64 v[133:134], v[108:109], s[26:27]
	;; [unrolled: 1-line block ×4, first 2 shown]
	v_add_f64 v[68:69], v[68:69], -v[112:113]
	v_add_f64 v[48:49], v[48:49], v[52:53]
	v_mul_f64 v[52:53], v[110:111], s[30:31]
	v_mul_f64 v[110:111], v[110:111], s[20:21]
	v_fma_f64 v[112:113], v[106:107], s[10:11], -v[56:57]
	v_fma_f64 v[56:57], v[106:107], s[10:11], v[56:57]
	v_fma_f64 v[141:142], v[106:107], s[36:37], -v[72:73]
	v_fma_f64 v[72:73], v[106:107], s[36:37], v[72:73]
	v_mul_f64 v[125:126], v[70:71], s[28:29]
	v_add_f64 v[44:45], v[44:45], v[48:49]
	v_mul_f64 v[48:49], v[108:109], s[20:21]
	v_mul_f64 v[108:109], v[108:109], s[42:43]
	v_fma_f64 v[143:144], v[106:107], s[16:17], -v[110:111]
	s_mov_b32 s0, 0x75d4884
	s_mov_b32 s28, 0x7faef3
	;; [unrolled: 1-line block ×4, first 2 shown]
	v_add_f64 v[38:39], v[38:39], v[44:45]
	v_add_f64 v[44:45], v[120:121], -v[114:115]
	v_fma_f64 v[120:121], v[106:107], s[2:3], -v[60:61]
	v_fma_f64 v[60:61], v[106:107], s[2:3], v[60:61]
	v_mul_f64 v[139:140], v[100:101], s[4:5]
	v_fma_f64 v[114:115], v[106:107], s[0:1], -v[52:53]
	v_fma_f64 v[52:53], v[106:107], s[0:1], v[52:53]
	v_fma_f64 v[145:146], v[104:105], s[16:17], -v[48:49]
	v_add_f64 v[34:35], v[34:35], v[38:39]
	v_fma_f64 v[38:39], v[106:107], s[24:25], -v[64:65]
	v_fma_f64 v[64:65], v[106:107], s[24:25], v[64:65]
	v_fma_f64 v[106:107], v[106:107], s[16:17], v[110:111]
	;; [unrolled: 1-line block ×3, first 2 shown]
	v_fma_f64 v[147:148], v[104:105], s[28:29], -v[135:136]
	v_fma_f64 v[135:136], v[104:105], s[28:29], v[135:136]
	v_fma_f64 v[149:150], v[104:105], s[36:37], -v[108:109]
	v_add_f64 v[30:31], v[30:31], v[34:35]
	v_fma_f64 v[34:35], v[104:105], s[0:1], v[131:132]
	v_add_f64 v[56:57], v[56:57], v[14:15]
	v_add_f64 v[60:61], v[60:61], v[14:15]
	;; [unrolled: 1-line block ×3, first 2 shown]
	s_mov_b32 s22, 0x910ea3b9
	s_mov_b32 s23, 0xbfeb34fa
	v_fma_f64 v[110:111], v[104:105], s[0:1], -v[131:132]
	v_add_f64 v[26:27], v[26:27], v[30:31]
	v_fma_f64 v[131:132], v[104:105], s[24:25], -v[133:134]
	v_fma_f64 v[133:134], v[104:105], s[24:25], v[133:134]
	v_fma_f64 v[30:31], v[104:105], s[22:23], -v[137:138]
	v_fma_f64 v[137:138], v[104:105], s[22:23], v[137:138]
	v_fma_f64 v[104:105], v[104:105], s[36:37], v[108:109]
	v_add_f64 v[68:69], v[68:69], v[14:15]
	v_add_f64 v[108:109], v[112:113], v[14:15]
	;; [unrolled: 1-line block ×15, first 2 shown]
	v_fma_f64 v[64:65], v[98:99], s[2:3], v[139:140]
	s_mov_b32 s39, 0x3fc7851a
	s_mov_b32 s38, s34
	v_add_f64 v[106:107], v[108:109], v[110:111]
	v_add_f64 v[26:27], v[26:27], v[131:132]
	;; [unrolled: 1-line block ×3, first 2 shown]
	v_mul_f64 v[72:73], v[100:101], s[20:21]
	v_add_f64 v[52:53], v[52:53], v[133:134]
	v_add_f64 v[10:11], v[18:19], v[10:11]
	v_mul_f64 v[108:109], v[100:101], s[38:39]
	v_add_f64 v[14:15], v[14:15], v[104:105]
	v_mul_f64 v[104:105], v[100:101], s[42:43]
	v_add_f64 v[44:45], v[68:69], v[44:45]
	v_add_f64 v[34:35], v[64:65], v[34:35]
	v_fma_f64 v[64:65], v[98:99], s[16:17], -v[72:73]
	v_fma_f64 v[68:69], v[98:99], s[16:17], v[72:73]
	s_mov_b32 s39, 0x3fe58eea
	s_mov_b32 s38, s30
	v_add_f64 v[18:19], v[112:113], v[145:146]
	v_add_f64 v[6:7], v[6:7], v[10:11]
	v_fma_f64 v[10:11], v[98:99], s[2:3], -v[139:140]
	v_fma_f64 v[72:73], v[98:99], s[28:29], -v[108:109]
	v_mul_f64 v[110:111], v[100:101], s[38:39]
	v_add_f64 v[26:27], v[64:65], v[26:27]
	v_mul_f64 v[64:65], v[100:101], s[18:19]
	v_add_f64 v[52:53], v[68:69], v[52:53]
	v_fma_f64 v[68:69], v[98:99], s[36:37], v[104:105]
	v_add_f64 v[30:31], v[114:115], v[30:31]
	v_add_f64 v[22:23], v[22:23], v[137:138]
	;; [unrolled: 1-line block ×3, first 2 shown]
	v_fma_f64 v[106:107], v[98:99], s[28:29], v[108:109]
	v_fma_f64 v[108:109], v[98:99], s[36:37], -v[104:105]
	v_add_f64 v[18:19], v[72:73], v[18:19]
	v_fma_f64 v[72:73], v[98:99], s[0:1], -v[110:111]
	v_fma_f64 v[100:101], v[98:99], s[0:1], v[110:111]
	v_fma_f64 v[104:105], v[98:99], s[10:11], -v[64:65]
	v_fma_f64 v[64:65], v[98:99], s[10:11], v[64:65]
	v_mul_f64 v[98:99], v[94:95], s[26:27]
	v_add_f64 v[56:57], v[68:69], v[56:57]
	v_mul_f64 v[68:69], v[94:95], s[34:35]
	v_add_f64 v[102:103], v[122:123], -v[102:103]
	v_add_f64 v[30:31], v[72:73], v[30:31]
	v_add_f64 v[22:23], v[100:101], v[22:23]
	v_mul_f64 v[100:101], v[94:95], s[42:43]
	v_add_f64 v[14:15], v[64:65], v[14:15]
	v_fma_f64 v[64:65], v[70:71], s[24:25], -v[98:99]
	v_fma_f64 v[72:73], v[70:71], s[24:25], v[98:99]
	v_fma_f64 v[98:99], v[70:71], s[28:29], -v[68:69]
	s_mov_b32 s45, 0x3fd71e95
	s_mov_b32 s44, s18
	v_add_f64 v[38:39], v[38:39], v[147:148]
	v_add_f64 v[44:45], v[102:103], v[44:45]
	v_mul_f64 v[102:103], v[94:95], s[44:45]
	v_add_f64 v[10:11], v[64:65], v[10:11]
	v_fma_f64 v[64:65], v[70:71], s[28:29], v[68:69]
	v_add_f64 v[26:27], v[98:99], v[26:27]
	v_fma_f64 v[68:69], v[70:71], s[36:37], -v[100:101]
	v_mul_f64 v[98:99], v[94:95], s[4:5]
	s_mov_b32 s49, 0xbfe0d888
	s_mov_b32 s48, s46
	v_add_f64 v[48:49], v[106:107], v[48:49]
	v_add_f64 v[38:39], v[108:109], v[38:39]
	;; [unrolled: 1-line block ×3, first 2 shown]
	v_fma_f64 v[72:73], v[70:71], s[36:37], v[100:101]
	v_fma_f64 v[100:101], v[70:71], s[10:11], -v[102:103]
	v_mul_f64 v[94:95], v[94:95], s[48:49]
	v_add_f64 v[52:53], v[64:65], v[52:53]
	v_fma_f64 v[64:65], v[70:71], s[10:11], v[102:103]
	v_add_f64 v[18:19], v[68:69], v[18:19]
	v_fma_f64 v[68:69], v[70:71], s[2:3], -v[98:99]
	v_add_f64 v[60:61], v[104:105], v[60:61]
	v_add_f64 v[48:49], v[72:73], v[48:49]
	v_fma_f64 v[72:73], v[70:71], s[2:3], v[98:99]
	v_add_f64 v[38:39], v[100:101], v[38:39]
	v_mul_f64 v[100:101], v[62:63], s[40:41]
	v_add_f64 v[56:57], v[64:65], v[56:57]
	v_mul_f64 v[64:65], v[62:63], s[46:47]
	v_add_f64 v[30:31], v[68:69], v[30:31]
	v_fma_f64 v[68:69], v[70:71], s[22:23], v[94:95]
	v_fma_f64 v[98:99], v[70:71], s[22:23], -v[94:95]
	v_add_f64 v[22:23], v[72:73], v[22:23]
	v_add_f64 v[70:71], v[125:126], -v[96:97]
	v_fma_f64 v[72:73], v[58:59], s[36:37], -v[100:101]
	s_mov_b32 s41, 0x3fefdd0d
	v_fma_f64 v[96:97], v[58:59], s[22:23], -v[64:65]
	v_fma_f64 v[64:65], v[58:59], s[22:23], v[64:65]
	v_add_f64 v[14:15], v[68:69], v[14:15]
	v_mul_f64 v[68:69], v[62:63], s[38:39]
	s_mov_b32 s40, s26
	v_fma_f64 v[94:95], v[58:59], s[36:37], v[100:101]
	v_add_f64 v[44:45], v[70:71], v[44:45]
	v_mul_f64 v[70:71], v[62:63], s[4:5]
	v_add_f64 v[10:11], v[72:73], v[10:11]
	v_add_f64 v[52:53], v[64:65], v[52:53]
	v_mul_f64 v[64:65], v[62:63], s[34:35]
	v_fma_f64 v[72:73], v[58:59], s[0:1], -v[68:69]
	v_fma_f64 v[68:69], v[58:59], s[0:1], v[68:69]
	v_mul_f64 v[62:63], v[62:63], s[40:41]
	v_add_f64 v[34:35], v[94:95], v[34:35]
	v_add_f64 v[26:27], v[96:97], v[26:27]
	v_fma_f64 v[94:95], v[58:59], s[2:3], -v[70:71]
	v_fma_f64 v[70:71], v[58:59], s[2:3], v[70:71]
	v_fma_f64 v[96:97], v[58:59], s[28:29], -v[64:65]
	v_add_f64 v[18:19], v[72:73], v[18:19]
	v_add_f64 v[48:49], v[68:69], v[48:49]
	v_mul_f64 v[68:69], v[50:51], s[20:21]
	v_fma_f64 v[64:65], v[58:59], s[28:29], v[64:65]
	v_fma_f64 v[72:73], v[58:59], s[24:25], -v[62:63]
	v_fma_f64 v[58:59], v[58:59], s[24:25], v[62:63]
	v_add_f64 v[62:63], v[127:128], -v[66:67]
	v_mul_f64 v[66:67], v[50:51], s[42:43]
	v_add_f64 v[56:57], v[70:71], v[56:57]
	v_add_f64 v[60:61], v[98:99], v[60:61]
	v_fma_f64 v[70:71], v[54:55], s[16:17], -v[68:69]
	v_add_f64 v[22:23], v[64:65], v[22:23]
	v_fma_f64 v[64:65], v[54:55], s[16:17], v[68:69]
	v_mul_f64 v[68:69], v[50:51], s[18:19]
	v_add_f64 v[14:15], v[58:59], v[14:15]
	v_add_f64 v[44:45], v[62:63], v[44:45]
	v_fma_f64 v[58:59], v[54:55], s[36:37], -v[66:67]
	v_fma_f64 v[62:63], v[54:55], s[36:37], v[66:67]
	v_mul_f64 v[66:67], v[50:51], s[48:49]
	v_add_f64 v[10:11], v[70:71], v[10:11]
	v_add_f64 v[34:35], v[64:65], v[34:35]
	v_fma_f64 v[64:65], v[54:55], s[10:11], -v[68:69]
	v_fma_f64 v[68:69], v[54:55], s[10:11], v[68:69]
	v_mul_f64 v[70:71], v[50:51], s[40:41]
	v_mul_f64 v[50:51], v[50:51], s[30:31]
	v_add_f64 v[52:53], v[62:63], v[52:53]
	v_fma_f64 v[62:63], v[54:55], s[22:23], v[66:67]
	v_add_f64 v[38:39], v[94:95], v[38:39]
	v_add_f64 v[60:61], v[72:73], v[60:61]
	;; [unrolled: 1-line block ×3, first 2 shown]
	v_fma_f64 v[58:59], v[54:55], s[22:23], -v[66:67]
	v_add_f64 v[18:19], v[64:65], v[18:19]
	v_add_f64 v[48:49], v[68:69], v[48:49]
	v_fma_f64 v[64:65], v[54:55], s[24:25], -v[70:71]
	v_fma_f64 v[66:67], v[54:55], s[24:25], v[70:71]
	v_fma_f64 v[68:69], v[54:55], s[0:1], -v[50:51]
	v_fma_f64 v[50:51], v[54:55], s[0:1], v[50:51]
	v_add_f64 v[54:55], v[62:63], v[56:57]
	v_mul_f64 v[56:57], v[16:17], s[48:49]
	v_add_f64 v[32:33], v[129:130], -v[32:33]
	v_add_f64 v[38:39], v[58:59], v[38:39]
	s_mov_b32 s5, 0x3feca52d
	v_add_f64 v[30:31], v[96:97], v[30:31]
	v_add_f64 v[58:59], v[68:69], v[60:61]
	;; [unrolled: 1-line block ×3, first 2 shown]
	v_mul_f64 v[50:51], v[16:17], s[4:5]
	v_fma_f64 v[60:61], v[20:21], s[22:23], -v[56:57]
	v_add_f64 v[32:33], v[32:33], v[44:45]
	v_fma_f64 v[44:45], v[20:21], s[22:23], v[56:57]
	v_mul_f64 v[56:57], v[16:17], s[26:27]
	s_mov_b32 s27, 0x3fe9895b
	s_mov_b32 s26, s20
	v_add_f64 v[30:31], v[64:65], v[30:31]
	v_mul_f64 v[62:63], v[16:17], s[26:27]
	v_add_f64 v[10:11], v[60:61], v[10:11]
	v_mul_f64 v[60:61], v[16:17], s[18:19]
	v_add_f64 v[34:35], v[44:45], v[34:35]
	v_fma_f64 v[44:45], v[20:21], s[24:25], -v[56:57]
	v_fma_f64 v[56:57], v[20:21], s[24:25], v[56:57]
	v_fma_f64 v[64:65], v[20:21], s[2:3], -v[50:51]
	v_fma_f64 v[50:51], v[20:21], s[2:3], v[50:51]
	v_mul_f64 v[16:17], v[16:17], s[34:35]
	v_add_f64 v[22:23], v[66:67], v[22:23]
	v_fma_f64 v[66:67], v[20:21], s[16:17], -v[62:63]
	v_fma_f64 v[62:63], v[20:21], s[16:17], v[62:63]
	v_add_f64 v[18:19], v[44:45], v[18:19]
	v_add_f64 v[44:45], v[56:57], v[48:49]
	v_fma_f64 v[48:49], v[20:21], s[10:11], -v[60:61]
	v_mul_f64 v[56:57], v[12:13], s[34:35]
	v_add_f64 v[50:51], v[50:51], v[52:53]
	v_fma_f64 v[52:53], v[20:21], s[10:11], v[60:61]
	v_fma_f64 v[60:61], v[20:21], s[28:29], -v[16:17]
	v_fma_f64 v[16:17], v[20:21], s[28:29], v[16:17]
	v_add_f64 v[20:21], v[46:47], -v[24:25]
	v_mul_f64 v[46:47], v[12:13], s[48:49]
	v_add_f64 v[24:25], v[48:49], v[30:31]
	v_mul_f64 v[30:31], v[12:13], s[44:45]
	v_fma_f64 v[48:49], v[4:5], s[28:29], -v[56:57]
	v_add_f64 v[26:27], v[64:65], v[26:27]
	v_add_f64 v[22:23], v[52:53], v[22:23]
	;; [unrolled: 1-line block ×5, first 2 shown]
	v_fma_f64 v[20:21], v[4:5], s[28:29], v[56:57]
	v_fma_f64 v[32:33], v[4:5], s[10:11], -v[30:31]
	v_add_f64 v[10:11], v[48:49], v[10:11]
	v_mul_f64 v[48:49], v[12:13], s[38:39]
	v_mul_f64 v[58:59], v[12:13], s[20:21]
	v_fma_f64 v[30:31], v[4:5], s[10:11], v[30:31]
	v_mul_f64 v[12:13], v[12:13], s[4:5]
	v_fma_f64 v[56:57], v[4:5], s[22:23], -v[46:47]
	v_add_f64 v[38:39], v[66:67], v[38:39]
	v_add_f64 v[20:21], v[20:21], v[34:35]
	;; [unrolled: 1-line block ×3, first 2 shown]
	v_fma_f64 v[32:33], v[4:5], s[22:23], v[46:47]
	v_fma_f64 v[34:35], v[4:5], s[0:1], -v[48:49]
	v_fma_f64 v[46:47], v[4:5], s[16:17], -v[58:59]
	v_add_f64 v[30:31], v[30:31], v[50:51]
	v_fma_f64 v[50:51], v[4:5], s[2:3], -v[12:13]
	v_add_f64 v[8:9], v[28:29], -v[8:9]
	v_fma_f64 v[12:13], v[4:5], s[2:3], v[12:13]
	v_add_f64 v[54:55], v[62:63], v[54:55]
	v_fma_f64 v[28:29], v[4:5], s[0:1], v[48:49]
	v_fma_f64 v[4:5], v[4:5], s[16:17], v[58:59]
	v_add_f64 v[18:19], v[56:57], v[18:19]
	v_add_f64 v[34:35], v[34:35], v[38:39]
	;; [unrolled: 1-line block ×9, first 2 shown]
	v_lshl_add_u32 v14, v124, 7, v116
	ds_write2_b64 v14, v[6:7], v[10:11] offset1:1
	ds_write2_b64 v14, v[26:27], v[18:19] offset0:2 offset1:3
	ds_write2_b64 v14, v[34:35], v[24:25] offset0:4 offset1:5
	;; [unrolled: 1-line block ×7, first 2 shown]
	ds_write_b64 v14, v[20:21] offset:128
.LBB0_15:
	s_or_b64 exec, exec, s[6:7]
	s_movk_i32 s0, 0xf1
	v_mul_lo_u16_sdwa v4, v124, s0 dst_sel:DWORD dst_unused:UNUSED_PAD src0_sel:BYTE_0 src1_sel:DWORD
	v_lshrrev_b16_e32 v68, 12, v4
	v_mul_lo_u16_e32 v4, 17, v68
	v_sub_u16_e32 v69, v124, v4
	v_mov_b32_e32 v4, 7
	v_mul_u32_u24_sdwa v4, v69, v4 dst_sel:DWORD dst_unused:UNUSED_PAD src0_sel:BYTE_0 src1_sel:DWORD
	v_lshlrev_b32_e32 v24, 4, v4
	s_waitcnt lgkmcnt(0)
	s_barrier
	global_load_dwordx4 v[4:7], v24, s[8:9]
	global_load_dwordx4 v[12:15], v24, s[8:9] offset:16
	global_load_dwordx4 v[16:19], v24, s[8:9] offset:32
	;; [unrolled: 1-line block ×6, first 2 shown]
	ds_read2_b64 v[24:27], v116 offset1:187
	ds_read2_b64 v[32:35], v117 offset0:54 offset1:241
	ds_read2_b64 v[28:31], v118 offset0:44 offset1:231
	;; [unrolled: 1-line block ×3, first 2 shown]
	s_mov_b32 s0, 0x667f3bcd
	s_mov_b32 s1, 0x3fe6a09e
	;; [unrolled: 1-line block ×4, first 2 shown]
	s_waitcnt vmcnt(0) lgkmcnt(0)
	s_barrier
	v_mul_f64 v[38:39], v[26:27], v[6:7]
	v_mul_f64 v[56:57], v[32:33], v[14:15]
	;; [unrolled: 1-line block ×13, first 2 shown]
	v_fma_f64 v[38:39], v[80:81], v[4:5], v[38:39]
	v_fma_f64 v[56:57], v[86:87], v[12:13], v[56:57]
	v_fma_f64 v[32:33], v[32:33], v[12:13], -v[14:15]
	v_fma_f64 v[12:13], v[88:89], v[16:17], v[58:59]
	v_fma_f64 v[14:15], v[34:35], v[16:17], -v[18:19]
	v_fma_f64 v[16:17], v[74:75], v[8:9], v[60:61]
	v_fma_f64 v[18:19], v[82:83], v[44:45], v[64:65]
	;; [unrolled: 1-line block ×4, first 2 shown]
	v_fma_f64 v[44:45], v[52:53], v[44:45], -v[46:47]
	v_fma_f64 v[46:47], v[54:55], v[48:49], -v[50:51]
	;; [unrolled: 1-line block ×4, first 2 shown]
	v_add_f64 v[16:17], v[78:79], -v[16:17]
	v_add_f64 v[26:27], v[56:57], -v[18:19]
	;; [unrolled: 1-line block ×7, first 2 shown]
	v_fma_f64 v[46:47], v[78:79], 2.0, -v[16:17]
	v_fma_f64 v[34:35], v[56:57], 2.0, -v[26:27]
	;; [unrolled: 1-line block ×4, first 2 shown]
	v_add_f64 v[50:51], v[16:17], v[30:31]
	v_add_f64 v[52:53], v[18:19], v[22:23]
	v_fma_f64 v[38:39], v[4:5], 2.0, -v[6:7]
	v_fma_f64 v[4:5], v[14:15], 2.0, -v[22:23]
	v_add_f64 v[55:56], v[6:7], -v[20:21]
	v_add_f64 v[14:15], v[46:47], -v[34:35]
	;; [unrolled: 1-line block ×3, first 2 shown]
	v_fma_f64 v[57:58], v[16:17], 2.0, -v[50:51]
	v_fma_f64 v[59:60], v[18:19], 2.0, -v[52:53]
	v_mov_b32_e32 v16, 3
	v_add_f64 v[44:45], v[38:39], -v[4:5]
	v_fma_f64 v[61:62], v[6:7], 2.0, -v[55:56]
	v_fma_f64 v[4:5], v[52:53], s[0:1], v[50:51]
	v_fma_f64 v[6:7], v[46:47], 2.0, -v[14:15]
	v_fma_f64 v[12:13], v[48:49], 2.0, -v[34:35]
	v_fma_f64 v[18:19], v[59:60], s[2:3], v[57:58]
	v_lshlrev_b32_sdwa v47, v16, v69 dst_sel:DWORD dst_unused:UNUSED_PAD src0_sel:DWORD src1_sel:BYTE_0
	v_mul_u32_u24_e32 v46, 0x440, v68
	v_add_f64 v[20:21], v[14:15], v[44:45]
	v_add3_u32 v54, 0, v46, v47
	v_fma_f64 v[22:23], v[55:56], s[0:1], v[4:5]
	v_mul_f64 v[48:49], v[52:53], s[0:1]
	v_add_f64 v[16:17], v[6:7], -v[12:13]
	v_fma_f64 v[18:19], v[61:62], s[0:1], v[18:19]
	v_mul_f64 v[52:53], v[55:56], s[0:1]
	v_mul_f64 v[46:47], v[59:60], s[0:1]
	v_fma_f64 v[12:13], v[14:15], 2.0, -v[20:21]
	s_movk_i32 s2, 0x88
	v_fma_f64 v[14:15], v[50:51], 2.0, -v[22:23]
	v_mul_f64 v[50:51], v[61:62], s[0:1]
	v_fma_f64 v[4:5], v[6:7], 2.0, -v[16:17]
	v_fma_f64 v[6:7], v[57:58], 2.0, -v[18:19]
	v_cmp_gt_u32_e64 s[0:1], s2, v124
	ds_write2_b64 v54, v[20:21], v[22:23] offset0:102 offset1:119
	ds_write2_b64 v54, v[12:13], v[14:15] offset0:34 offset1:51
	;; [unrolled: 1-line block ×3, first 2 shown]
	ds_write2_b64 v54, v[4:5], v[6:7] offset1:17
	s_waitcnt lgkmcnt(0)
	s_barrier
	s_and_saveexec_b64 s[2:3], s[0:1]
	s_cbranch_execz .LBB0_17
; %bb.16:
	v_add_u32_e32 v0, 0x800, v116
	ds_read2_b64 v[12:15], v0 offset0:16 offset1:152
	v_add_u32_e32 v0, 0x1000, v116
	ds_read2_b64 v[16:19], v0 offset0:32 offset1:168
	;; [unrolled: 2-line block ×3, first 2 shown]
	v_add_u32_e32 v0, 0x2000, v116
	ds_read2_b64 v[4:7], v116 offset1:136
	ds_read2_b64 v[0:3], v0 offset0:64 offset1:200
	ds_read_b64 v[92:93], v116 offset:10880
.LBB0_17:
	s_or_b64 exec, exec, s[2:3]
	v_mul_f64 v[10:11], v[74:75], v[10:11]
	s_waitcnt lgkmcnt(0)
	s_barrier
	v_fma_f64 v[8:9], v[28:29], v[8:9], -v[10:11]
	v_fma_f64 v[10:11], v[32:33], 2.0, -v[30:31]
	v_add_f64 v[8:9], v[24:25], -v[8:9]
	v_fma_f64 v[24:25], v[24:25], 2.0, -v[8:9]
	v_add_f64 v[26:27], v[8:9], -v[26:27]
	v_add_f64 v[10:11], v[24:25], -v[10:11]
	v_fma_f64 v[55:56], v[8:9], 2.0, -v[26:27]
	v_fma_f64 v[8:9], v[38:39], 2.0, -v[44:45]
	v_add_f64 v[28:29], v[26:27], v[52:53]
	v_fma_f64 v[38:39], v[24:25], 2.0, -v[10:11]
	v_add_f64 v[24:25], v[55:56], -v[50:51]
	v_add_f64 v[32:33], v[10:11], -v[34:35]
	v_add_f64 v[34:35], v[28:29], -v[48:49]
	v_add_f64 v[28:29], v[38:39], -v[8:9]
	v_add_f64 v[30:31], v[24:25], -v[46:47]
	v_fma_f64 v[24:25], v[10:11], 2.0, -v[32:33]
	v_fma_f64 v[26:27], v[26:27], 2.0, -v[34:35]
	v_fma_f64 v[8:9], v[38:39], 2.0, -v[28:29]
	v_fma_f64 v[10:11], v[55:56], 2.0, -v[30:31]
	ds_write2_b64 v54, v[32:33], v[34:35] offset0:102 offset1:119
	ds_write2_b64 v54, v[24:25], v[26:27] offset0:34 offset1:51
	;; [unrolled: 1-line block ×3, first 2 shown]
	ds_write2_b64 v54, v[8:9], v[10:11] offset1:17
	s_waitcnt lgkmcnt(0)
	s_barrier
	s_and_saveexec_b64 s[2:3], s[0:1]
	s_cbranch_execnz .LBB0_20
; %bb.18:
	s_or_b64 exec, exec, s[2:3]
	s_and_b64 s[0:1], vcc, s[0:1]
	s_and_saveexec_b64 s[2:3], s[0:1]
	s_cbranch_execnz .LBB0_21
.LBB0_19:
	s_endpgm
.LBB0_20:
	v_add_u32_e32 v24, 0x800, v116
	v_add_u32_e32 v28, 0x1000, v116
	;; [unrolled: 1-line block ×4, first 2 shown]
	ds_read2_b64 v[8:11], v116 offset1:136
	ds_read2_b64 v[24:27], v24 offset0:16 offset1:152
	ds_read2_b64 v[28:31], v28 offset0:32 offset1:168
	;; [unrolled: 1-line block ×4, first 2 shown]
	ds_read_b64 v[36:37], v116 offset:10880
	s_or_b64 exec, exec, s[2:3]
	s_and_b64 s[0:1], vcc, s[0:1]
	s_and_saveexec_b64 s[2:3], s[0:1]
	s_cbranch_execz .LBB0_19
.LBB0_21:
	v_mul_u32_u24_e32 v38, 10, v124
	v_lshlrev_b32_e32 v38, 4, v38
	global_load_dwordx4 v[44:47], v38, s[8:9] offset:1968
	global_load_dwordx4 v[48:51], v38, s[8:9] offset:1984
	global_load_dwordx4 v[52:55], v38, s[8:9] offset:1952
	global_load_dwordx4 v[56:59], v38, s[8:9] offset:2000
	global_load_dwordx4 v[60:63], v38, s[8:9] offset:1936
	global_load_dwordx4 v[64:67], v38, s[8:9] offset:2016
	global_load_dwordx4 v[68:71], v38, s[8:9] offset:1920
	global_load_dwordx4 v[72:75], v38, s[8:9] offset:2032
	global_load_dwordx4 v[76:79], v38, s[8:9] offset:1904
	global_load_dwordx4 v[80:83], v38, s[8:9] offset:2048
	s_mov_b32 s20, 0xfd768dbf
	s_mov_b32 s21, 0xbfd207e7
	;; [unrolled: 1-line block ×26, first 2 shown]
	s_waitcnt vmcnt(9) lgkmcnt(3)
	v_mul_f64 v[38:39], v[30:31], v[46:47]
	s_waitcnt vmcnt(8) lgkmcnt(2)
	v_mul_f64 v[84:85], v[32:33], v[50:51]
	v_mul_f64 v[50:51], v[20:21], v[50:51]
	s_waitcnt vmcnt(7)
	v_mul_f64 v[86:87], v[28:29], v[54:55]
	s_waitcnt vmcnt(6)
	v_mul_f64 v[88:89], v[34:35], v[58:59]
	v_mul_f64 v[54:55], v[16:17], v[54:55]
	;; [unrolled: 1-line block ×3, first 2 shown]
	s_waitcnt vmcnt(5)
	v_mul_f64 v[94:95], v[26:27], v[62:63]
	v_mul_f64 v[62:63], v[14:15], v[62:63]
	s_waitcnt vmcnt(1)
	v_mul_f64 v[102:103], v[10:11], v[78:79]
	s_waitcnt vmcnt(0) lgkmcnt(0)
	v_mul_f64 v[104:105], v[36:37], v[82:83]
	v_mul_f64 v[96:97], v[40:41], v[66:67]
	;; [unrolled: 1-line block ×7, first 2 shown]
	v_fma_f64 v[106:107], v[18:19], v[44:45], v[38:39]
	v_fma_f64 v[84:85], v[20:21], v[48:49], v[84:85]
	v_fma_f64 v[48:49], v[32:33], v[48:49], -v[50:51]
	v_fma_f64 v[50:51], v[16:17], v[52:53], v[86:87]
	v_fma_f64 v[52:53], v[28:29], v[52:53], -v[54:55]
	v_fma_f64 v[54:55], v[34:35], v[56:57], -v[58:59]
	v_fma_f64 v[38:39], v[14:15], v[60:61], v[94:95]
	v_fma_f64 v[34:35], v[26:27], v[60:61], -v[62:63]
	v_fma_f64 v[60:61], v[6:7], v[76:77], v[102:103]
	v_fma_f64 v[6:7], v[92:93], v[80:81], v[104:105]
	v_mul_f64 v[46:47], v[18:19], v[46:47]
	v_mul_f64 v[70:71], v[12:13], v[70:71]
	;; [unrolled: 1-line block ×3, first 2 shown]
	v_fma_f64 v[58:59], v[40:41], v[64:65], -v[66:67]
	v_fma_f64 v[40:41], v[12:13], v[68:69], v[98:99]
	v_fma_f64 v[18:19], v[2:3], v[72:73], v[100:101]
	v_fma_f64 v[62:63], v[10:11], v[76:77], -v[78:79]
	v_fma_f64 v[20:21], v[36:37], v[80:81], -v[82:83]
	v_add_f64 v[78:79], v[60:61], -v[6:7]
	v_fma_f64 v[46:47], v[30:31], v[44:45], -v[46:47]
	v_fma_f64 v[86:87], v[22:23], v[56:57], v[88:89]
	v_fma_f64 v[56:57], v[0:1], v[64:65], v[96:97]
	v_fma_f64 v[44:45], v[24:25], v[68:69], -v[70:71]
	v_fma_f64 v[42:43], v[42:43], v[72:73], -v[74:75]
	v_add_f64 v[74:75], v[40:41], -v[18:19]
	v_add_f64 v[80:81], v[62:63], v[20:21]
	v_mul_f64 v[14:15], v[78:79], s[20:21]
	v_add_f64 v[36:37], v[106:107], -v[84:85]
	v_add_f64 v[66:67], v[50:51], -v[86:87]
	;; [unrolled: 1-line block ×3, first 2 shown]
	v_add_f64 v[64:65], v[46:47], v[48:49]
	v_add_f64 v[76:77], v[44:45], v[42:43]
	v_mul_f64 v[12:13], v[74:75], s[24:25]
	v_add_f64 v[68:69], v[52:53], v[54:55]
	v_fma_f64 v[122:123], v[80:81], s[16:17], v[14:15]
	v_add_f64 v[72:73], v[34:35], v[58:59]
	v_add_f64 v[108:109], v[62:63], -v[20:21]
	v_mul_f64 v[0:1], v[36:37], s[6:7]
	v_mul_f64 v[2:3], v[66:67], s[10:11]
	;; [unrolled: 1-line block ×3, first 2 shown]
	v_fma_f64 v[129:130], v[76:77], s[18:19], v[12:13]
	v_fma_f64 v[14:15], v[80:81], s[16:17], -v[14:15]
	v_add_f64 v[122:123], v[8:9], v[122:123]
	v_add_f64 v[102:103], v[44:45], -v[42:43]
	v_add_f64 v[104:105], v[60:61], v[6:7]
	v_mul_f64 v[28:29], v[108:109], s[20:21]
	v_mul_f64 v[112:113], v[78:79], s[8:9]
	;; [unrolled: 1-line block ×3, first 2 shown]
	v_fma_f64 v[120:121], v[64:65], s[2:3], v[0:1]
	v_fma_f64 v[125:126], v[68:69], s[4:5], v[2:3]
	;; [unrolled: 1-line block ×3, first 2 shown]
	v_fma_f64 v[141:142], v[64:65], s[2:3], -v[0:1]
	v_fma_f64 v[0:1], v[68:69], s[4:5], -v[2:3]
	v_fma_f64 v[2:3], v[76:77], s[18:19], -v[12:13]
	v_add_f64 v[14:15], v[8:9], v[14:15]
	v_add_f64 v[122:123], v[129:130], v[122:123]
	v_add_f64 v[98:99], v[34:35], -v[58:59]
	v_add_f64 v[100:101], v[40:41], v[18:19]
	v_mul_f64 v[26:27], v[102:103], s[24:25]
	v_mul_f64 v[110:111], v[74:75], s[26:27]
	;; [unrolled: 1-line block ×3, first 2 shown]
	v_fma_f64 v[135:136], v[104:105], s[16:17], -v[28:29]
	v_fma_f64 v[10:11], v[72:73], s[0:1], -v[10:11]
	v_fma_f64 v[28:29], v[104:105], s[16:17], v[28:29]
	v_fma_f64 v[129:130], v[80:81], s[0:1], v[112:113]
	v_add_f64 v[2:3], v[2:3], v[14:15]
	v_add_f64 v[14:15], v[127:128], v[122:123]
	v_fma_f64 v[127:128], v[104:105], s[0:1], -v[118:119]
	v_add_f64 v[88:89], v[46:47], -v[48:49]
	v_add_f64 v[94:95], v[52:53], -v[54:55]
	v_add_f64 v[96:97], v[38:39], v[56:57]
	v_mul_f64 v[24:25], v[98:99], s[8:9]
	v_mul_f64 v[32:33], v[70:71], s[22:23]
	v_mul_f64 v[114:115], v[98:99], s[22:23]
	v_fma_f64 v[139:140], v[100:101], s[18:19], -v[26:27]
	v_add_f64 v[12:13], v[4:5], v[135:136]
	v_fma_f64 v[26:27], v[100:101], s[18:19], v[26:27]
	v_fma_f64 v[122:123], v[76:77], s[2:3], v[110:111]
	v_add_f64 v[28:29], v[4:5], v[28:29]
	v_add_f64 v[129:130], v[8:9], v[129:130]
	;; [unrolled: 1-line block ×4, first 2 shown]
	v_fma_f64 v[125:126], v[100:101], s[2:3], -v[116:117]
	v_add_f64 v[127:128], v[4:5], v[127:128]
	v_add_f64 v[82:83], v[106:107], v[84:85]
	v_add_f64 v[92:93], v[50:51], v[86:87]
	v_mul_f64 v[16:17], v[88:89], s[6:7]
	v_mul_f64 v[22:23], v[94:95], s[10:11]
	;; [unrolled: 1-line block ×3, first 2 shown]
	v_fma_f64 v[137:138], v[96:97], s[0:1], -v[24:25]
	v_fma_f64 v[24:25], v[96:97], s[0:1], v[24:25]
	v_add_f64 v[12:13], v[139:140], v[12:13]
	v_fma_f64 v[14:15], v[72:73], s[18:19], v[32:33]
	v_add_f64 v[26:27], v[26:27], v[28:29]
	v_add_f64 v[28:29], v[122:123], v[129:130]
	;; [unrolled: 1-line block ×4, first 2 shown]
	v_fma_f64 v[0:1], v[96:97], s[18:19], -v[114:115]
	v_add_f64 v[10:11], v[125:126], v[127:128]
	v_fma_f64 v[112:113], v[80:81], s[0:1], -v[112:113]
	v_fma_f64 v[131:132], v[82:83], s[2:3], -v[16:17]
	;; [unrolled: 1-line block ×3, first 2 shown]
	v_fma_f64 v[22:23], v[92:93], s[4:5], v[22:23]
	v_add_f64 v[12:13], v[137:138], v[12:13]
	v_mul_f64 v[120:121], v[94:95], s[20:21]
	v_add_f64 v[24:25], v[24:25], v[26:27]
	v_mul_f64 v[26:27], v[36:37], s[10:11]
	v_fma_f64 v[125:126], v[68:69], s[16:17], v[30:31]
	v_add_f64 v[14:15], v[14:15], v[28:29]
	v_add_f64 v[0:1], v[0:1], v[10:11]
	v_fma_f64 v[10:11], v[82:83], s[2:3], v[16:17]
	v_fma_f64 v[16:17], v[76:77], s[2:3], -v[110:111]
	v_add_f64 v[110:111], v[8:9], v[112:113]
	v_add_f64 v[12:13], v[133:134], v[12:13]
	v_fma_f64 v[127:128], v[92:93], s[16:17], -v[120:121]
	v_add_f64 v[22:23], v[22:23], v[24:25]
	v_fma_f64 v[24:25], v[64:65], s[4:5], v[26:27]
	v_add_f64 v[112:113], v[125:126], v[14:15]
	v_fma_f64 v[32:33], v[72:73], s[18:19], -v[32:33]
	v_fma_f64 v[118:119], v[104:105], s[0:1], v[118:119]
	v_add_f64 v[110:111], v[16:17], v[110:111]
	v_mul_f64 v[28:29], v[88:89], s[10:11]
	v_add_f64 v[127:128], v[127:128], v[0:1]
	v_add_f64 v[0:1], v[131:132], v[12:13]
	;; [unrolled: 1-line block ×4, first 2 shown]
	v_mul_f64 v[112:113], v[78:79], s[6:7]
	v_fma_f64 v[22:23], v[68:69], s[16:17], -v[30:31]
	v_add_f64 v[24:25], v[32:33], v[110:111]
	v_fma_f64 v[30:31], v[100:101], s[2:3], v[116:117]
	v_add_f64 v[32:33], v[4:5], v[118:119]
	v_fma_f64 v[125:126], v[82:83], s[4:5], -v[28:29]
	v_mul_f64 v[110:111], v[74:75], s[28:29]
	v_fma_f64 v[114:115], v[96:97], s[18:19], v[114:115]
	v_fma_f64 v[116:117], v[80:81], s[2:3], v[112:113]
	v_mul_f64 v[118:119], v[108:109], s[6:7]
	v_add_f64 v[16:17], v[141:142], v[122:123]
	v_add_f64 v[22:23], v[22:23], v[24:25]
	;; [unrolled: 1-line block ×4, first 2 shown]
	v_mul_f64 v[32:33], v[70:71], s[10:11]
	v_fma_f64 v[24:25], v[76:77], s[16:17], v[110:111]
	v_add_f64 v[116:117], v[8:9], v[116:117]
	v_fma_f64 v[120:121], v[92:93], s[16:17], v[120:121]
	v_mul_f64 v[122:123], v[102:103], s[28:29]
	v_fma_f64 v[125:126], v[104:105], s[2:3], -v[118:119]
	v_add_f64 v[30:31], v[114:115], v[30:31]
	v_fma_f64 v[26:27], v[64:65], s[4:5], -v[26:27]
	v_fma_f64 v[28:29], v[82:83], s[4:5], v[28:29]
	v_mul_f64 v[114:115], v[66:67], s[22:23]
	v_fma_f64 v[127:128], v[72:73], s[4:5], v[32:33]
	v_add_f64 v[116:117], v[24:25], v[116:117]
	v_mul_f64 v[129:130], v[98:99], s[10:11]
	v_fma_f64 v[131:132], v[100:101], s[16:17], -v[122:123]
	v_add_f64 v[125:126], v[4:5], v[125:126]
	v_add_f64 v[30:31], v[120:121], v[30:31]
	;; [unrolled: 1-line block ×3, first 2 shown]
	v_mul_f64 v[120:121], v[36:37], s[8:9]
	v_fma_f64 v[26:27], v[68:69], s[18:19], v[114:115]
	v_add_f64 v[116:117], v[127:128], v[116:117]
	v_mul_f64 v[127:128], v[94:95], s[22:23]
	v_fma_f64 v[133:134], v[96:97], s[4:5], -v[129:130]
	v_add_f64 v[125:126], v[131:132], v[125:126]
	v_add_f64 v[22:23], v[28:29], v[30:31]
	v_fma_f64 v[28:29], v[80:81], s[2:3], -v[112:113]
	v_fma_f64 v[118:119], v[104:105], s[2:3], v[118:119]
	s_mov_b32 s11, 0xbfed1bb4
	v_mul_f64 v[30:31], v[88:89], s[8:9]
	v_fma_f64 v[112:113], v[64:65], s[0:1], v[120:121]
	v_add_f64 v[26:27], v[26:27], v[116:117]
	v_fma_f64 v[116:117], v[92:93], s[18:19], -v[127:128]
	v_add_f64 v[125:126], v[133:134], v[125:126]
	v_fma_f64 v[110:111], v[76:77], s[16:17], -v[110:111]
	v_add_f64 v[28:29], v[8:9], v[28:29]
	v_mul_f64 v[133:134], v[78:79], s[10:11]
	v_fma_f64 v[122:123], v[100:101], s[16:17], v[122:123]
	v_add_f64 v[118:119], v[4:5], v[118:119]
	v_fma_f64 v[131:132], v[82:83], s[0:1], -v[30:31]
	v_fma_f64 v[32:33], v[72:73], s[4:5], -v[32:33]
	v_add_f64 v[116:117], v[116:117], v[125:126]
	v_fma_f64 v[129:130], v[96:97], s[4:5], v[129:130]
	v_add_f64 v[110:111], v[110:111], v[28:29]
	v_add_f64 v[28:29], v[112:113], v[26:27]
	v_mul_f64 v[112:113], v[74:75], s[8:9]
	v_fma_f64 v[125:126], v[80:81], s[4:5], v[133:134]
	v_add_f64 v[118:119], v[122:123], v[118:119]
	v_fma_f64 v[114:115], v[68:69], s[18:19], -v[114:115]
	v_add_f64 v[26:27], v[131:132], v[116:117]
	v_fma_f64 v[30:31], v[82:83], s[0:1], v[30:31]
	v_add_f64 v[32:33], v[32:33], v[110:111]
	v_mul_f64 v[110:111], v[70:71], s[28:29]
	v_fma_f64 v[116:117], v[76:77], s[0:1], v[112:113]
	v_add_f64 v[122:123], v[8:9], v[125:126]
	v_fma_f64 v[125:126], v[92:93], s[18:19], v[127:128]
	v_add_f64 v[118:119], v[129:130], v[118:119]
	v_mul_f64 v[127:128], v[108:109], s[10:11]
	v_mul_f64 v[78:79], v[78:79], s[22:23]
	v_add_f64 v[32:33], v[114:115], v[32:33]
	v_mul_f64 v[114:115], v[66:67], s[26:27]
	v_fma_f64 v[129:130], v[72:73], s[16:17], v[110:111]
	v_add_f64 v[116:117], v[116:117], v[122:123]
	v_mul_f64 v[122:123], v[102:103], s[8:9]
	v_add_f64 v[118:119], v[125:126], v[118:119]
	v_fma_f64 v[125:126], v[104:105], s[4:5], -v[127:128]
	v_fma_f64 v[133:134], v[80:81], s[4:5], -v[133:134]
	v_fma_f64 v[127:128], v[104:105], s[4:5], v[127:128]
	v_fma_f64 v[131:132], v[68:69], s[2:3], v[114:115]
	v_mul_f64 v[74:75], v[74:75], s[10:11]
	v_add_f64 v[116:117], v[129:130], v[116:117]
	v_mul_f64 v[129:130], v[98:99], s[28:29]
	v_add_f64 v[30:31], v[30:31], v[118:119]
	v_fma_f64 v[118:119], v[100:101], s[0:1], -v[122:123]
	v_add_f64 v[125:126], v[4:5], v[125:126]
	v_fma_f64 v[143:144], v[80:81], s[18:19], v[78:79]
	v_fma_f64 v[120:121], v[64:65], s[0:1], -v[120:121]
	v_fma_f64 v[112:113], v[76:77], s[0:1], -v[112:113]
	v_add_f64 v[116:117], v[131:132], v[116:117]
	v_fma_f64 v[131:132], v[96:97], s[16:17], -v[129:130]
	v_add_f64 v[133:134], v[8:9], v[133:134]
	v_fma_f64 v[122:123], v[100:101], s[0:1], v[122:123]
	v_add_f64 v[118:119], v[118:119], v[125:126]
	v_add_f64 v[127:128], v[4:5], v[127:128]
	v_mul_f64 v[70:71], v[70:71], s[6:7]
	v_add_f64 v[143:144], v[8:9], v[143:144]
	v_mul_f64 v[139:140], v[94:95], s[26:27]
	v_add_f64 v[32:33], v[120:121], v[32:33]
	v_mul_f64 v[120:121], v[36:37], s[24:25]
	v_fma_f64 v[110:111], v[72:73], s[16:17], -v[110:111]
	v_add_f64 v[118:119], v[131:132], v[118:119]
	v_fma_f64 v[131:132], v[76:77], s[4:5], v[74:75]
	v_add_f64 v[112:113], v[112:113], v[133:134]
	v_fma_f64 v[129:130], v[96:97], s[16:17], v[129:130]
	v_add_f64 v[122:123], v[122:123], v[127:128]
	v_mul_f64 v[66:67], v[66:67], s[8:9]
	v_fma_f64 v[127:128], v[72:73], s[2:3], v[70:71]
	v_add_f64 v[62:63], v[8:9], v[62:63]
	v_mul_f64 v[135:136], v[88:89], s[24:25]
	v_add_f64 v[131:132], v[131:132], v[143:144]
	v_fma_f64 v[141:142], v[92:93], s[2:3], -v[139:140]
	v_add_f64 v[60:61], v[4:5], v[60:61]
	v_fma_f64 v[137:138], v[64:65], s[18:19], v[120:121]
	v_fma_f64 v[114:115], v[68:69], s[2:3], -v[114:115]
	v_add_f64 v[110:111], v[110:111], v[112:113]
	v_add_f64 v[122:123], v[129:130], v[122:123]
	v_mul_f64 v[129:130], v[36:37], s[20:21]
	v_fma_f64 v[36:37], v[68:69], s[0:1], v[66:67]
	v_add_f64 v[127:128], v[127:128], v[131:132]
	v_add_f64 v[44:45], v[44:45], v[62:63]
	v_fma_f64 v[125:126], v[82:83], s[18:19], -v[135:136]
	v_add_f64 v[118:119], v[141:142], v[118:119]
	v_add_f64 v[40:41], v[40:41], v[60:61]
	v_fma_f64 v[112:113], v[92:93], s[2:3], v[139:140]
	v_add_f64 v[62:63], v[114:115], v[110:111]
	v_fma_f64 v[120:121], v[64:65], s[18:19], -v[120:121]
	v_add_f64 v[114:115], v[36:37], v[127:128]
	v_add_f64 v[36:37], v[137:138], v[116:117]
	;; [unrolled: 1-line block ×5, first 2 shown]
	v_fma_f64 v[110:111], v[82:83], s[18:19], v[135:136]
	v_add_f64 v[60:61], v[112:113], v[122:123]
	v_mul_f64 v[108:109], v[108:109], s[22:23]
	v_add_f64 v[40:41], v[120:121], v[62:63]
	v_mul_f64 v[62:63], v[102:103], s[10:11]
	v_add_f64 v[52:53], v[52:53], v[116:117]
	v_fma_f64 v[78:79], v[80:81], s[18:19], -v[78:79]
	v_add_f64 v[50:51], v[50:51], v[118:119]
	v_mul_f64 v[80:81], v[98:99], s[6:7]
	v_add_f64 v[38:39], v[110:111], v[60:61]
	v_mul_f64 v[60:61], v[88:89], s[20:21]
	v_fma_f64 v[88:89], v[104:105], s[18:19], -v[108:109]
	v_fma_f64 v[98:99], v[104:105], s[18:19], v[108:109]
	v_add_f64 v[46:47], v[46:47], v[52:53]
	v_fma_f64 v[52:53], v[100:101], s[4:5], -v[62:63]
	v_add_f64 v[50:51], v[106:107], v[50:51]
	v_fma_f64 v[74:75], v[76:77], s[4:5], -v[74:75]
	v_add_f64 v[8:9], v[8:9], v[78:79]
	v_fma_f64 v[62:63], v[100:101], s[4:5], v[62:63]
	v_add_f64 v[88:89], v[4:5], v[88:89]
	v_add_f64 v[4:5], v[4:5], v[98:99]
	;; [unrolled: 1-line block ×3, first 2 shown]
	v_mul_f64 v[94:95], v[94:95], s[8:9]
	v_add_f64 v[50:51], v[84:85], v[50:51]
	v_fma_f64 v[48:49], v[96:97], s[2:3], -v[80:81]
	v_fma_f64 v[70:71], v[72:73], s[2:3], -v[70:71]
	v_add_f64 v[8:9], v[74:75], v[8:9]
	v_add_f64 v[52:53], v[52:53], v[88:89]
	v_fma_f64 v[72:73], v[96:97], s[2:3], v[80:81]
	v_add_f64 v[46:47], v[54:55], v[46:47]
	v_add_f64 v[4:5], v[62:63], v[4:5]
	;; [unrolled: 1-line block ×3, first 2 shown]
	v_fma_f64 v[54:55], v[92:93], s[0:1], -v[94:95]
	v_fma_f64 v[62:63], v[92:93], s[0:1], v[94:95]
	v_add_f64 v[8:9], v[70:71], v[8:9]
	v_add_f64 v[48:49], v[48:49], v[52:53]
	v_fma_f64 v[52:53], v[68:69], s[0:1], -v[66:67]
	v_add_f64 v[46:47], v[58:59], v[46:47]
	v_add_f64 v[4:5], v[72:73], v[4:5]
	;; [unrolled: 1-line block ×3, first 2 shown]
	v_fma_f64 v[58:59], v[82:83], s[16:17], -v[60:61]
	v_fma_f64 v[112:113], v[64:65], s[16:17], v[129:130]
	v_add_f64 v[48:49], v[54:55], v[48:49]
	v_fma_f64 v[54:55], v[64:65], s[16:17], -v[129:130]
	v_add_f64 v[8:9], v[52:53], v[8:9]
	v_add_f64 v[56:57], v[42:43], v[46:47]
	;; [unrolled: 1-line block ×3, first 2 shown]
	v_fma_f64 v[52:53], v[82:83], s[16:17], v[60:61]
	v_mad_u64_u32 v[60:61], s[0:1], s12, v124, 0
	v_add_f64 v[4:5], v[62:63], v[4:5]
	v_add_f64 v[42:43], v[58:59], v[48:49]
	;; [unrolled: 1-line block ×3, first 2 shown]
	v_mov_b32_e32 v8, v61
	v_mad_u64_u32 v[50:51], s[0:1], s13, v124, v[8:9]
	v_add_f64 v[8:9], v[20:21], v[56:57]
	v_add_u32_e32 v20, 0x88, v124
	v_add_f64 v[6:7], v[6:7], v[18:19]
	v_mad_u64_u32 v[18:19], s[0:1], s12, v20, 0
	v_add_f64 v[46:47], v[52:53], v[4:5]
	v_mov_b32_e32 v61, v50
	v_mov_b32_e32 v4, s15
	v_add_co_u32_e32 v50, vcc, s14, v90
	v_mad_u64_u32 v[19:20], s[0:1], s13, v20, v[19:20]
	v_add_u32_e32 v52, 0x110, v124
	v_addc_co_u32_e32 v51, vcc, v4, v91, vcc
	v_lshlrev_b64 v[4:5], 4, v[60:61]
	v_mad_u64_u32 v[20:21], s[0:1], s12, v52, 0
	v_add_co_u32_e32 v4, vcc, v50, v4
	v_addc_co_u32_e32 v5, vcc, v51, v5, vcc
	global_store_dwordx4 v[4:5], v[6:9], off
	v_lshlrev_b64 v[4:5], 4, v[18:19]
	v_mov_b32_e32 v6, v21
	v_mad_u64_u32 v[6:7], s[0:1], s13, v52, v[6:7]
	v_add_u32_e32 v8, 0x198, v124
	v_add_co_u32_e32 v4, vcc, v50, v4
	v_mov_b32_e32 v21, v6
	v_mad_u64_u32 v[6:7], s[0:1], s12, v8, 0
	v_addc_co_u32_e32 v5, vcc, v51, v5, vcc
	v_mad_u64_u32 v[7:8], s[0:1], s13, v8, v[7:8]
	v_add_u32_e32 v18, 0x220, v124
	global_store_dwordx4 v[4:5], v[46:49], off
	v_lshlrev_b64 v[4:5], 4, v[20:21]
	v_mad_u64_u32 v[8:9], s[0:1], s12, v18, 0
	v_add_co_u32_e32 v4, vcc, v50, v4
	v_addc_co_u32_e32 v5, vcc, v51, v5, vcc
	global_store_dwordx4 v[4:5], v[38:41], off
	v_lshlrev_b64 v[4:5], 4, v[6:7]
	v_mov_b32_e32 v6, v9
	v_mad_u64_u32 v[6:7], s[0:1], s13, v18, v[6:7]
	v_add_co_u32_e32 v4, vcc, v50, v4
	v_addc_co_u32_e32 v5, vcc, v51, v5, vcc
	v_mov_b32_e32 v9, v6
	global_store_dwordx4 v[4:5], v[30:33], off
	v_lshlrev_b64 v[4:5], 4, v[8:9]
	v_add_u32_e32 v8, 0x2a8, v124
	v_mad_u64_u32 v[6:7], s[0:1], s12, v8, 0
	v_add_u32_e32 v18, 0x330, v124
	v_add_co_u32_e32 v4, vcc, v50, v4
	v_mad_u64_u32 v[7:8], s[0:1], s13, v8, v[7:8]
	v_mad_u64_u32 v[8:9], s[0:1], s12, v18, 0
	v_addc_co_u32_e32 v5, vcc, v51, v5, vcc
	global_store_dwordx4 v[4:5], v[22:25], off
	v_lshlrev_b64 v[4:5], 4, v[6:7]
	v_mov_b32_e32 v6, v9
	v_mad_u64_u32 v[6:7], s[0:1], s13, v18, v[6:7]
	v_add_co_u32_e32 v4, vcc, v50, v4
	v_addc_co_u32_e32 v5, vcc, v51, v5, vcc
	v_mov_b32_e32 v9, v6
	global_store_dwordx4 v[4:5], v[14:17], off
	v_lshlrev_b64 v[4:5], 4, v[8:9]
	v_add_u32_e32 v8, 0x3b8, v124
	v_mad_u64_u32 v[6:7], s[0:1], s12, v8, 0
	v_add_u32_e32 v14, 0x440, v124
	v_add_co_u32_e32 v4, vcc, v50, v4
	v_mad_u64_u32 v[7:8], s[0:1], s13, v8, v[7:8]
	v_mad_u64_u32 v[8:9], s[0:1], s12, v14, 0
	v_addc_co_u32_e32 v5, vcc, v51, v5, vcc
	global_store_dwordx4 v[4:5], v[0:3], off
	v_add_u32_e32 v4, 0x4c8, v124
	v_mov_b32_e32 v2, v9
	v_mad_u64_u32 v[2:3], s[0:1], s13, v14, v[2:3]
	v_lshlrev_b64 v[0:1], 4, v[6:7]
	v_add_u32_e32 v6, 0x550, v124
	v_mov_b32_e32 v9, v2
	v_mad_u64_u32 v[2:3], s[0:1], s12, v4, 0
	v_add_co_u32_e32 v0, vcc, v50, v0
	v_addc_co_u32_e32 v1, vcc, v51, v1, vcc
	v_mad_u64_u32 v[3:4], s[0:1], s13, v4, v[3:4]
	global_store_dwordx4 v[0:1], v[10:13], off
	v_lshlrev_b64 v[0:1], 4, v[8:9]
	v_mad_u64_u32 v[4:5], s[0:1], s12, v6, 0
	v_add_co_u32_e32 v0, vcc, v50, v0
	v_addc_co_u32_e32 v1, vcc, v51, v1, vcc
	global_store_dwordx4 v[0:1], v[26:29], off
	v_lshlrev_b64 v[0:1], 4, v[2:3]
	v_mov_b32_e32 v2, v5
	v_mad_u64_u32 v[2:3], s[0:1], s13, v6, v[2:3]
	v_add_f64 v[44:45], v[112:113], v[114:115]
	v_add_co_u32_e32 v0, vcc, v50, v0
	v_addc_co_u32_e32 v1, vcc, v51, v1, vcc
	v_mov_b32_e32 v5, v2
	global_store_dwordx4 v[0:1], v[34:37], off
	v_lshlrev_b64 v[0:1], 4, v[4:5]
	v_add_co_u32_e32 v0, vcc, v50, v0
	v_addc_co_u32_e32 v1, vcc, v51, v1, vcc
	global_store_dwordx4 v[0:1], v[42:45], off
	s_endpgm
	.section	.rodata,"a",@progbits
	.p2align	6, 0x0
	.amdhsa_kernel fft_rtc_back_len1496_factors_17_8_11_wgs_187_tpt_187_halfLds_dp_ip_CI_sbrr_dirReg
		.amdhsa_group_segment_fixed_size 0
		.amdhsa_private_segment_fixed_size 0
		.amdhsa_kernarg_size 88
		.amdhsa_user_sgpr_count 6
		.amdhsa_user_sgpr_private_segment_buffer 1
		.amdhsa_user_sgpr_dispatch_ptr 0
		.amdhsa_user_sgpr_queue_ptr 0
		.amdhsa_user_sgpr_kernarg_segment_ptr 1
		.amdhsa_user_sgpr_dispatch_id 0
		.amdhsa_user_sgpr_flat_scratch_init 0
		.amdhsa_user_sgpr_private_segment_size 0
		.amdhsa_uses_dynamic_stack 0
		.amdhsa_system_sgpr_private_segment_wavefront_offset 0
		.amdhsa_system_sgpr_workgroup_id_x 1
		.amdhsa_system_sgpr_workgroup_id_y 0
		.amdhsa_system_sgpr_workgroup_id_z 0
		.amdhsa_system_sgpr_workgroup_info 0
		.amdhsa_system_vgpr_workitem_id 0
		.amdhsa_next_free_vgpr 161
		.amdhsa_next_free_sgpr 60
		.amdhsa_reserve_vcc 1
		.amdhsa_reserve_flat_scratch 0
		.amdhsa_float_round_mode_32 0
		.amdhsa_float_round_mode_16_64 0
		.amdhsa_float_denorm_mode_32 3
		.amdhsa_float_denorm_mode_16_64 3
		.amdhsa_dx10_clamp 1
		.amdhsa_ieee_mode 1
		.amdhsa_fp16_overflow 0
		.amdhsa_exception_fp_ieee_invalid_op 0
		.amdhsa_exception_fp_denorm_src 0
		.amdhsa_exception_fp_ieee_div_zero 0
		.amdhsa_exception_fp_ieee_overflow 0
		.amdhsa_exception_fp_ieee_underflow 0
		.amdhsa_exception_fp_ieee_inexact 0
		.amdhsa_exception_int_div_zero 0
	.end_amdhsa_kernel
	.text
.Lfunc_end0:
	.size	fft_rtc_back_len1496_factors_17_8_11_wgs_187_tpt_187_halfLds_dp_ip_CI_sbrr_dirReg, .Lfunc_end0-fft_rtc_back_len1496_factors_17_8_11_wgs_187_tpt_187_halfLds_dp_ip_CI_sbrr_dirReg
                                        ; -- End function
	.section	.AMDGPU.csdata,"",@progbits
; Kernel info:
; codeLenInByte = 13632
; NumSgprs: 64
; NumVgprs: 161
; ScratchSize: 0
; MemoryBound: 1
; FloatMode: 240
; IeeeMode: 1
; LDSByteSize: 0 bytes/workgroup (compile time only)
; SGPRBlocks: 7
; VGPRBlocks: 40
; NumSGPRsForWavesPerEU: 64
; NumVGPRsForWavesPerEU: 161
; Occupancy: 1
; WaveLimiterHint : 1
; COMPUTE_PGM_RSRC2:SCRATCH_EN: 0
; COMPUTE_PGM_RSRC2:USER_SGPR: 6
; COMPUTE_PGM_RSRC2:TRAP_HANDLER: 0
; COMPUTE_PGM_RSRC2:TGID_X_EN: 1
; COMPUTE_PGM_RSRC2:TGID_Y_EN: 0
; COMPUTE_PGM_RSRC2:TGID_Z_EN: 0
; COMPUTE_PGM_RSRC2:TIDIG_COMP_CNT: 0
	.type	__hip_cuid_b63a9a24d0f1c994,@object ; @__hip_cuid_b63a9a24d0f1c994
	.section	.bss,"aw",@nobits
	.globl	__hip_cuid_b63a9a24d0f1c994
__hip_cuid_b63a9a24d0f1c994:
	.byte	0                               ; 0x0
	.size	__hip_cuid_b63a9a24d0f1c994, 1

	.ident	"AMD clang version 19.0.0git (https://github.com/RadeonOpenCompute/llvm-project roc-6.4.0 25133 c7fe45cf4b819c5991fe208aaa96edf142730f1d)"
	.section	".note.GNU-stack","",@progbits
	.addrsig
	.addrsig_sym __hip_cuid_b63a9a24d0f1c994
	.amdgpu_metadata
---
amdhsa.kernels:
  - .args:
      - .actual_access:  read_only
        .address_space:  global
        .offset:         0
        .size:           8
        .value_kind:     global_buffer
      - .offset:         8
        .size:           8
        .value_kind:     by_value
      - .actual_access:  read_only
        .address_space:  global
        .offset:         16
        .size:           8
        .value_kind:     global_buffer
      - .actual_access:  read_only
        .address_space:  global
        .offset:         24
        .size:           8
        .value_kind:     global_buffer
      - .offset:         32
        .size:           8
        .value_kind:     by_value
      - .actual_access:  read_only
        .address_space:  global
        .offset:         40
        .size:           8
        .value_kind:     global_buffer
      - .actual_access:  read_only
        .address_space:  global
        .offset:         48
        .size:           8
        .value_kind:     global_buffer
      - .offset:         56
        .size:           4
        .value_kind:     by_value
      - .actual_access:  read_only
        .address_space:  global
        .offset:         64
        .size:           8
        .value_kind:     global_buffer
      - .actual_access:  read_only
        .address_space:  global
        .offset:         72
        .size:           8
        .value_kind:     global_buffer
      - .address_space:  global
        .offset:         80
        .size:           8
        .value_kind:     global_buffer
    .group_segment_fixed_size: 0
    .kernarg_segment_align: 8
    .kernarg_segment_size: 88
    .language:       OpenCL C
    .language_version:
      - 2
      - 0
    .max_flat_workgroup_size: 187
    .name:           fft_rtc_back_len1496_factors_17_8_11_wgs_187_tpt_187_halfLds_dp_ip_CI_sbrr_dirReg
    .private_segment_fixed_size: 0
    .sgpr_count:     64
    .sgpr_spill_count: 0
    .symbol:         fft_rtc_back_len1496_factors_17_8_11_wgs_187_tpt_187_halfLds_dp_ip_CI_sbrr_dirReg.kd
    .uniform_work_group_size: 1
    .uses_dynamic_stack: false
    .vgpr_count:     161
    .vgpr_spill_count: 0
    .wavefront_size: 64
amdhsa.target:   amdgcn-amd-amdhsa--gfx906
amdhsa.version:
  - 1
  - 2
...

	.end_amdgpu_metadata
